;; amdgpu-corpus repo=pytorch/pytorch kind=compiled arch=gfx90a opt=O3
	.text
	.amdgcn_target "amdgcn-amd-amdhsa--gfx90a"
	.amdhsa_code_object_version 6
	.section	.text._ZN2at6native12_GLOBAL__N_125multi_tensor_apply_kernelINS1_18TensorListMetadataILi3EEENS1_19FusedSgdMathFunctorIdLi3EEEJddPfddbbbS7_S7_EEEvT_T0_DpT1_,"axG",@progbits,_ZN2at6native12_GLOBAL__N_125multi_tensor_apply_kernelINS1_18TensorListMetadataILi3EEENS1_19FusedSgdMathFunctorIdLi3EEEJddPfddbbbS7_S7_EEEvT_T0_DpT1_,comdat
	.globl	_ZN2at6native12_GLOBAL__N_125multi_tensor_apply_kernelINS1_18TensorListMetadataILi3EEENS1_19FusedSgdMathFunctorIdLi3EEEJddPfddbbbS7_S7_EEEvT_T0_DpT1_ ; -- Begin function _ZN2at6native12_GLOBAL__N_125multi_tensor_apply_kernelINS1_18TensorListMetadataILi3EEENS1_19FusedSgdMathFunctorIdLi3EEEJddPfddbbbS7_S7_EEEvT_T0_DpT1_
	.p2align	8
	.type	_ZN2at6native12_GLOBAL__N_125multi_tensor_apply_kernelINS1_18TensorListMetadataILi3EEENS1_19FusedSgdMathFunctorIdLi3EEEJddPfddbbbS7_S7_EEEvT_T0_DpT1_,@function
_ZN2at6native12_GLOBAL__N_125multi_tensor_apply_kernelINS1_18TensorListMetadataILi3EEENS1_19FusedSgdMathFunctorIdLi3EEEJddPfddbbbS7_S7_EEEvT_T0_DpT1_: ; @_ZN2at6native12_GLOBAL__N_125multi_tensor_apply_kernelINS1_18TensorListMetadataILi3EEENS1_19FusedSgdMathFunctorIdLi3EEEJddPfddbbbS7_S7_EEEvT_T0_DpT1_
; %bb.0:
	s_load_dwordx4 s[28:31], s[4:5], 0xc80
	s_waitcnt lgkmcnt(0)
	s_cmp_eq_u64 s[30:31], 0
	s_cselect_b64 s[0:1], -1, 0
	s_and_b64 vcc, exec, s[0:1]
	s_cbranch_vccnz .LBB0_2
; %bb.1:
	s_load_dword s0, s[30:31], 0x0
	s_waitcnt lgkmcnt(0)
	v_cmp_neq_f32_e64 s[0:1], s0, 1.0
.LBB0_2:
	s_andn2_b64 vcc, exec, s[0:1]
	s_cbranch_vccnz .LBB0_74
; %bb.3:
	v_mov_b32_e32 v1, s6
	global_load_ubyte v1, v1, s[4:5] offset:1536
	s_add_u32 s0, s4, s6
	s_mul_hi_u32 s1, s6, 3
	s_mul_i32 s6, s6, 3
	s_addc_u32 s2, s5, 0
	s_add_u32 s0, s0, s6
	s_load_dwordx2 s[30:31], s[4:5], 0xc70
	s_load_dwordx8 s[20:27], s[4:5], 0xc50
	s_addc_u32 s1, s2, s1
	s_load_dword s10, s[0:1], 0x740
	s_mov_b32 s9, 0
	s_waitcnt lgkmcnt(0)
	s_cmp_eq_u64 s[24:25], 0
	v_pk_mov_b32 v[26:27], s[26:27], s[26:27] op_sel:[0,1]
	s_waitcnt vmcnt(0)
	v_readfirstlane_b32 s8, v1
	s_cbranch_scc1 .LBB0_5
; %bb.4:
	s_load_dword s0, s[24:25], 0x0
	s_waitcnt lgkmcnt(0)
	v_cvt_f64_f32_e32 v[26:27], s0
.LBB0_5:
	s_load_dword s6, s[4:5], 0xc78
	s_waitcnt lgkmcnt(0)
	s_bitcmp1_b32 s6, 0
	s_cselect_b64 s[0:1], -1, 0
	s_bitcmp1_b32 s6, 8
	s_cselect_b64 s[2:3], -1, 0
	;; [unrolled: 2-line block ×3, first 2 shown]
	s_and_b32 s8, s8, 0xff
	s_lshl_b32 s8, s8, 3
	s_load_dwordx2 s[12:13], s[4:5], s8 offset:0x480
	s_ashr_i32 s11, s10, 31
	s_lshl_b64 s[14:15], s[10:11], 16
	s_load_dwordx2 s[16:17], s[4:5], s8 offset:0x0
	s_load_dwordx2 s[18:19], s[4:5], s8 offset:0x180
	;; [unrolled: 1-line block ×3, first 2 shown]
	s_waitcnt lgkmcnt(0)
	s_sub_u32 s24, s12, s14
	s_subb_u32 s25, s13, s15
	s_lshl_b64 s[10:11], s[10:11], 19
	s_add_u32 s33, s16, s10
	s_addc_u32 s42, s17, s11
	s_and_b32 s8, s33, 31
	s_add_u32 s40, s18, s10
	s_addc_u32 s43, s19, s11
	s_and_b32 s13, s40, 31
	;; [unrolled: 3-line block ×3, first 2 shown]
	s_and_b32 s11, s12, 3
	s_or_b32 s10, s11, s10
	s_or_b32 s10, s10, s13
	;; [unrolled: 1-line block ×3, first 2 shown]
	s_cmp_eq_u64 s[8:9], 0
	s_mov_b64 s[8:9], -1
	s_cbranch_scc1 .LBB0_60
; %bb.6:
	v_cmp_lt_i64_e64 s[8:9], s[24:25], 1
	s_and_b64 vcc, exec, s[8:9]
	s_cbranch_vccnz .LBB0_59
; %bb.7:
	s_load_dword s10, s[4:5], 0xc9c
	v_mov_b32_e32 v2, 0x10000
	v_mov_b32_e32 v3, 0
	v_cmp_lt_i64_e32 vcc, s[24:25], v[2:3]
	s_and_b64 s[8:9], vcc, exec
	s_cselect_b32 s27, s25, 0
	s_cselect_b32 s26, s24, 0x10000
	s_waitcnt lgkmcnt(0)
	s_and_b32 s45, s10, 0xffff
	s_lshl_b32 s46, s45, 1
	s_mov_b32 s11, 0
	s_cmp_lg_u64 s[28:29], 0
	s_mul_i32 s47, s45, 3
	s_mov_b32 s48, s11
	s_mov_b64 s[34:35], 0
	s_cselect_b64 s[36:37], -1, 0
	v_cmp_neq_f64_e64 s[8:9], s[20:21], 0
	v_add_f64 v[2:3], -s[30:31], 1.0
	s_lshl_b32 s49, s45, 2
	v_mov_b32_e32 v1, s11
	v_mov_b32_e32 v40, s11
	s_branch .LBB0_9
.LBB0_8:                                ;   in Loop: Header=BB0_9 Depth=1
	s_or_b64 exec, exec, s[10:11]
	s_add_i32 s34, s34, s49
	s_ashr_i32 s35, s34, 31
	v_pk_mov_b32 v[4:5], s[26:27], s[26:27] op_sel:[0,1]
	v_cmp_lt_i64_e32 vcc, s[34:35], v[4:5]
	s_cbranch_vccz .LBB0_59
.LBB0_9:                                ; =>This Inner Loop Header: Depth=1
	v_mov_b32_e32 v5, s35
	v_add_co_u32_e32 v4, vcc, s34, v0
	v_addc_co_u32_e32 v5, vcc, 0, v5, vcc
	v_pk_mov_b32 v[22:23], 0, 0
	v_cmp_gt_i64_e64 s[10:11], s[26:27], v[4:5]
	v_pk_mov_b32 v[20:21], v[22:23], v[22:23] op_sel:[0,1]
	v_pk_mov_b32 v[10:11], v[22:23], v[22:23] op_sel:[0,1]
	s_and_saveexec_b64 s[12:13], s[10:11]
	s_cbranch_execz .LBB0_11
; %bb.10:                               ;   in Loop: Header=BB0_9 Depth=1
	v_lshlrev_b64 v[6:7], 3, v[4:5]
	v_mov_b32_e32 v9, s43
	v_add_co_u32_e32 v8, vcc, s40, v6
	v_addc_co_u32_e32 v9, vcc, v9, v7, vcc
	v_mov_b32_e32 v10, s42
	v_add_co_u32_e32 v6, vcc, s33, v6
	v_addc_co_u32_e32 v7, vcc, v10, v7, vcc
	global_load_dwordx2 v[20:21], v[6:7], off
	global_load_dwordx2 v[10:11], v[8:9], off
.LBB0_11:                               ;   in Loop: Header=BB0_9 Depth=1
	s_or_b64 exec, exec, s[12:13]
	s_and_saveexec_b64 s[12:13], s[10:11]
	s_cbranch_execz .LBB0_13
; %bb.12:                               ;   in Loop: Header=BB0_9 Depth=1
	v_lshlrev_b64 v[6:7], 3, v[4:5]
	v_mov_b32_e32 v8, s44
	v_add_co_u32_e32 v6, vcc, s41, v6
	v_addc_co_u32_e32 v7, vcc, v8, v7, vcc
	global_load_dwordx2 v[22:23], v[6:7], off
.LBB0_13:                               ;   in Loop: Header=BB0_9 Depth=1
	s_or_b64 exec, exec, s[12:13]
	v_add_co_u32_e32 v6, vcc, s45, v4
	v_addc_co_u32_e32 v7, vcc, v5, v1, vcc
	v_pk_mov_b32 v[28:29], 0, 0
	v_cmp_gt_i64_e64 s[12:13], s[26:27], v[6:7]
	v_pk_mov_b32 v[24:25], v[28:29], v[28:29] op_sel:[0,1]
	v_pk_mov_b32 v[12:13], v[28:29], v[28:29] op_sel:[0,1]
	s_and_saveexec_b64 s[14:15], s[12:13]
	s_cbranch_execz .LBB0_15
; %bb.14:                               ;   in Loop: Header=BB0_9 Depth=1
	v_lshlrev_b64 v[8:9], 3, v[6:7]
	v_mov_b32_e32 v12, s43
	v_add_co_u32_e32 v14, vcc, s40, v8
	v_addc_co_u32_e32 v15, vcc, v12, v9, vcc
	v_mov_b32_e32 v12, s42
	v_add_co_u32_e32 v8, vcc, s33, v8
	v_addc_co_u32_e32 v9, vcc, v12, v9, vcc
	global_load_dwordx2 v[24:25], v[8:9], off
	global_load_dwordx2 v[12:13], v[14:15], off
.LBB0_15:                               ;   in Loop: Header=BB0_9 Depth=1
	s_or_b64 exec, exec, s[14:15]
	s_and_saveexec_b64 s[14:15], s[12:13]
	s_cbranch_execz .LBB0_17
; %bb.16:                               ;   in Loop: Header=BB0_9 Depth=1
	v_lshlrev_b64 v[8:9], 3, v[6:7]
	v_mov_b32_e32 v14, s44
	v_add_co_u32_e32 v8, vcc, s41, v8
	v_addc_co_u32_e32 v9, vcc, v14, v9, vcc
	global_load_dwordx2 v[28:29], v[8:9], off
.LBB0_17:                               ;   in Loop: Header=BB0_9 Depth=1
	s_or_b64 exec, exec, s[14:15]
	;; [unrolled: 30-line block ×3, first 2 shown]
	v_mov_b32_e32 v15, s48
	v_add_co_u32_e32 v14, vcc, s47, v4
	v_addc_co_u32_e32 v15, vcc, v5, v15, vcc
	v_pk_mov_b32 v[36:37], 0, 0
	v_cmp_gt_i64_e64 s[16:17], s[26:27], v[14:15]
	v_pk_mov_b32 v[34:35], v[36:37], v[36:37] op_sel:[0,1]
	v_pk_mov_b32 v[18:19], v[36:37], v[36:37] op_sel:[0,1]
	s_and_saveexec_b64 s[18:19], s[16:17]
	s_cbranch_execz .LBB0_23
; %bb.22:                               ;   in Loop: Header=BB0_9 Depth=1
	v_lshlrev_b64 v[18:19], 3, v[14:15]
	v_mov_b32_e32 v34, s43
	v_add_co_u32_e32 v38, vcc, s40, v18
	v_addc_co_u32_e32 v39, vcc, v34, v19, vcc
	v_mov_b32_e32 v34, s42
	v_add_co_u32_e32 v42, vcc, s33, v18
	v_addc_co_u32_e32 v43, vcc, v34, v19, vcc
	global_load_dwordx2 v[34:35], v[42:43], off
	global_load_dwordx2 v[18:19], v[38:39], off
.LBB0_23:                               ;   in Loop: Header=BB0_9 Depth=1
	s_or_b64 exec, exec, s[18:19]
	s_and_saveexec_b64 s[18:19], s[16:17]
	s_cbranch_execz .LBB0_25
; %bb.24:                               ;   in Loop: Header=BB0_9 Depth=1
	v_lshlrev_b64 v[36:37], 3, v[14:15]
	v_mov_b32_e32 v38, s44
	v_add_co_u32_e32 v36, vcc, s41, v36
	v_addc_co_u32_e32 v37, vcc, v38, v37, vcc
	global_load_dwordx2 v[36:37], v[36:37], off
.LBB0_25:                               ;   in Loop: Header=BB0_9 Depth=1
	s_or_b64 exec, exec, s[18:19]
	v_cndmask_b32_e64 v38, 0, 1, s[36:37]
	v_cmp_ne_u32_e64 s[18:19], 1, v38
	s_andn2_b64 vcc, exec, s[36:37]
	s_cbranch_vccnz .LBB0_27
; %bb.26:                               ;   in Loop: Header=BB0_9 Depth=1
	s_load_dword s35, s[28:29], 0x0
	s_waitcnt lgkmcnt(0)
	v_cvt_f64_f32_e32 v[38:39], s35
	s_waitcnt vmcnt(0)
	v_div_scale_f64 v[42:43], s[38:39], v[38:39], v[38:39], v[10:11]
	v_rcp_f64_e32 v[44:45], v[42:43]
	v_div_scale_f64 v[46:47], vcc, v[10:11], v[38:39], v[10:11]
	v_fma_f64 v[48:49], -v[42:43], v[44:45], 1.0
	v_fmac_f64_e32 v[44:45], v[44:45], v[48:49]
	v_fma_f64 v[48:49], -v[42:43], v[44:45], 1.0
	v_fmac_f64_e32 v[44:45], v[44:45], v[48:49]
	v_mul_f64 v[48:49], v[46:47], v[44:45]
	v_fma_f64 v[42:43], -v[42:43], v[48:49], v[46:47]
	v_div_fmas_f64 v[42:43], v[42:43], v[44:45], v[48:49]
	v_div_fixup_f64 v[10:11], v[42:43], v[38:39], v[10:11]
.LBB0_27:                               ;   in Loop: Header=BB0_9 Depth=1
	s_and_b64 vcc, exec, s[18:19]
	s_cbranch_vccnz .LBB0_29
; %bb.28:                               ;   in Loop: Header=BB0_9 Depth=1
	s_load_dword s35, s[28:29], 0x0
	s_waitcnt lgkmcnt(0)
	v_cvt_f64_f32_e32 v[38:39], s35
	s_waitcnt vmcnt(0)
	v_div_scale_f64 v[42:43], s[38:39], v[38:39], v[38:39], v[12:13]
	v_rcp_f64_e32 v[44:45], v[42:43]
	v_div_scale_f64 v[46:47], vcc, v[12:13], v[38:39], v[12:13]
	v_fma_f64 v[48:49], -v[42:43], v[44:45], 1.0
	v_fmac_f64_e32 v[44:45], v[44:45], v[48:49]
	v_fma_f64 v[48:49], -v[42:43], v[44:45], 1.0
	v_fmac_f64_e32 v[44:45], v[44:45], v[48:49]
	v_mul_f64 v[48:49], v[46:47], v[44:45]
	v_fma_f64 v[42:43], -v[42:43], v[48:49], v[46:47]
	v_div_fmas_f64 v[42:43], v[42:43], v[44:45], v[48:49]
	v_div_fixup_f64 v[12:13], v[42:43], v[38:39], v[12:13]
.LBB0_29:                               ;   in Loop: Header=BB0_9 Depth=1
	s_and_b64 vcc, exec, s[18:19]
	s_cbranch_vccnz .LBB0_31
; %bb.30:                               ;   in Loop: Header=BB0_9 Depth=1
	s_load_dword s35, s[28:29], 0x0
	s_waitcnt lgkmcnt(0)
	v_cvt_f64_f32_e32 v[38:39], s35
	s_waitcnt vmcnt(0)
	v_div_scale_f64 v[42:43], s[38:39], v[38:39], v[38:39], v[16:17]
	v_rcp_f64_e32 v[44:45], v[42:43]
	v_div_scale_f64 v[46:47], vcc, v[16:17], v[38:39], v[16:17]
	v_fma_f64 v[48:49], -v[42:43], v[44:45], 1.0
	v_fmac_f64_e32 v[44:45], v[44:45], v[48:49]
	v_fma_f64 v[48:49], -v[42:43], v[44:45], 1.0
	v_fmac_f64_e32 v[44:45], v[44:45], v[48:49]
	v_mul_f64 v[48:49], v[46:47], v[44:45]
	v_fma_f64 v[42:43], -v[42:43], v[48:49], v[46:47]
	v_div_fmas_f64 v[42:43], v[42:43], v[44:45], v[48:49]
	v_div_fixup_f64 v[16:17], v[42:43], v[38:39], v[16:17]
.LBB0_31:                               ;   in Loop: Header=BB0_9 Depth=1
	s_and_b64 vcc, exec, s[18:19]
	s_cbranch_vccnz .LBB0_33
; %bb.32:                               ;   in Loop: Header=BB0_9 Depth=1
	s_load_dword s35, s[28:29], 0x0
	s_waitcnt lgkmcnt(0)
	v_cvt_f64_f32_e32 v[38:39], s35
	s_waitcnt vmcnt(0)
	v_div_scale_f64 v[42:43], s[38:39], v[38:39], v[38:39], v[18:19]
	v_rcp_f64_e32 v[44:45], v[42:43]
	v_div_scale_f64 v[46:47], vcc, v[18:19], v[38:39], v[18:19]
	v_fma_f64 v[48:49], -v[42:43], v[44:45], 1.0
	v_fmac_f64_e32 v[44:45], v[44:45], v[48:49]
	v_fma_f64 v[48:49], -v[42:43], v[44:45], 1.0
	v_fmac_f64_e32 v[44:45], v[44:45], v[48:49]
	v_mul_f64 v[48:49], v[46:47], v[44:45]
	v_fma_f64 v[42:43], -v[42:43], v[48:49], v[46:47]
	v_div_fmas_f64 v[42:43], v[42:43], v[44:45], v[48:49]
	v_div_fixup_f64 v[18:19], v[42:43], v[38:39], v[18:19]
.LBB0_33:                               ;   in Loop: Header=BB0_9 Depth=1
	s_waitcnt vmcnt(0)
	v_xor_b32_e32 v38, 0x80000000, v11
	v_cndmask_b32_e64 v39, v11, v38, s[2:3]
	v_cndmask_b32_e64 v38, v10, v10, s[2:3]
	v_pk_mov_b32 v[42:43], v[38:39], v[38:39] op_sel:[0,1]
	v_fmac_f64_e32 v[42:43], s[20:21], v[20:21]
	v_cndmask_b32_e64 v39, v39, v43, s[8:9]
	v_cndmask_b32_e64 v38, v38, v42, s[8:9]
	v_mul_f64 v[42:43], v[2:3], v[38:39]
	v_fmac_f64_e32 v[42:43], s[22:23], v[22:23]
	v_cndmask_b32_e64 v23, v43, v39, s[6:7]
	v_cndmask_b32_e64 v22, v42, v38, s[6:7]
	s_and_saveexec_b64 s[38:39], s[10:11]
	s_cbranch_execz .LBB0_35
; %bb.34:                               ;   in Loop: Header=BB0_9 Depth=1
	v_fmac_f64_e32 v[38:39], s[22:23], v[22:23]
	v_cndmask_b32_e64 v39, v23, v39, s[0:1]
	v_cndmask_b32_e64 v38, v22, v38, s[0:1]
	v_fma_f64 v[20:21], -v[26:27], v[38:39], v[20:21]
	v_lshlrev_b64 v[38:39], 3, v[4:5]
	v_mov_b32_e32 v41, s42
	v_add_co_u32_e32 v38, vcc, s33, v38
	v_addc_co_u32_e32 v39, vcc, v41, v39, vcc
	global_store_dwordx2 v[38:39], v[20:21], off
.LBB0_35:                               ;   in Loop: Header=BB0_9 Depth=1
	s_or_b64 exec, exec, s[38:39]
	v_xor_b32_e32 v20, 0x80000000, v13
	v_cndmask_b32_e64 v21, v13, v20, s[2:3]
	v_cndmask_b32_e64 v20, v12, v12, s[2:3]
	v_pk_mov_b32 v[38:39], v[20:21], v[20:21] op_sel:[0,1]
	v_fmac_f64_e32 v[38:39], s[20:21], v[24:25]
	v_cndmask_b32_e64 v39, v21, v39, s[8:9]
	v_cndmask_b32_e64 v38, v20, v38, s[8:9]
	v_mul_f64 v[20:21], v[2:3], v[38:39]
	v_fmac_f64_e32 v[20:21], s[22:23], v[28:29]
	v_cndmask_b32_e64 v21, v21, v39, s[6:7]
	v_cndmask_b32_e64 v20, v20, v38, s[6:7]
	s_and_saveexec_b64 s[38:39], s[12:13]
	s_cbranch_execz .LBB0_37
; %bb.36:                               ;   in Loop: Header=BB0_9 Depth=1
	v_fmac_f64_e32 v[38:39], s[22:23], v[20:21]
	v_cndmask_b32_e64 v29, v21, v39, s[0:1]
	v_cndmask_b32_e64 v28, v20, v38, s[0:1]
	v_fma_f64 v[24:25], -v[26:27], v[28:29], v[24:25]
	v_lshlrev_b64 v[28:29], 3, v[6:7]
	v_mov_b32_e32 v38, s42
	v_add_co_u32_e32 v28, vcc, s33, v28
	v_addc_co_u32_e32 v29, vcc, v38, v29, vcc
	global_store_dwordx2 v[28:29], v[24:25], off
.LBB0_37:                               ;   in Loop: Header=BB0_9 Depth=1
	s_or_b64 exec, exec, s[38:39]
	;; [unrolled: 25-line block ×3, first 2 shown]
	v_xor_b32_e32 v28, 0x80000000, v19
	v_cndmask_b32_e64 v29, v19, v28, s[2:3]
	v_cndmask_b32_e64 v28, v18, v18, s[2:3]
	v_pk_mov_b32 v[30:31], v[28:29], v[28:29] op_sel:[0,1]
	v_fmac_f64_e32 v[30:31], s[20:21], v[34:35]
	v_cndmask_b32_e64 v31, v29, v31, s[8:9]
	v_cndmask_b32_e64 v30, v28, v30, s[8:9]
	v_mul_f64 v[28:29], v[2:3], v[30:31]
	v_fmac_f64_e32 v[28:29], s[22:23], v[36:37]
	v_cndmask_b32_e64 v29, v29, v31, s[6:7]
	v_cndmask_b32_e64 v28, v28, v30, s[6:7]
	s_and_saveexec_b64 s[38:39], s[16:17]
	s_cbranch_execz .LBB0_41
; %bb.40:                               ;   in Loop: Header=BB0_9 Depth=1
	v_fmac_f64_e32 v[30:31], s[22:23], v[28:29]
	v_cndmask_b32_e64 v31, v29, v31, s[0:1]
	v_cndmask_b32_e64 v30, v28, v30, s[0:1]
	v_lshlrev_b64 v[32:33], 3, v[14:15]
	v_fma_f64 v[30:31], -v[26:27], v[30:31], v[34:35]
	v_mov_b32_e32 v34, s42
	v_add_co_u32_e32 v32, vcc, s33, v32
	v_addc_co_u32_e32 v33, vcc, v34, v33, vcc
	global_store_dwordx2 v[32:33], v[30:31], off
.LBB0_41:                               ;   in Loop: Header=BB0_9 Depth=1
	s_or_b64 exec, exec, s[38:39]
	s_and_b64 vcc, exec, s[18:19]
	s_cbranch_vccnz .LBB0_48
; %bb.42:                               ;   in Loop: Header=BB0_9 Depth=1
	s_and_saveexec_b64 s[18:19], s[10:11]
	s_cbranch_execnz .LBB0_56
; %bb.43:                               ;   in Loop: Header=BB0_9 Depth=1
	s_or_b64 exec, exec, s[18:19]
	s_and_saveexec_b64 s[18:19], s[12:13]
	s_cbranch_execnz .LBB0_57
.LBB0_44:                               ;   in Loop: Header=BB0_9 Depth=1
	s_or_b64 exec, exec, s[18:19]
	s_and_saveexec_b64 s[18:19], s[14:15]
	s_cbranch_execnz .LBB0_58
.LBB0_45:                               ;   in Loop: Header=BB0_9 Depth=1
	s_or_b64 exec, exec, s[18:19]
	s_and_saveexec_b64 s[18:19], s[16:17]
	s_cbranch_execz .LBB0_47
.LBB0_46:                               ;   in Loop: Header=BB0_9 Depth=1
	v_lshlrev_b64 v[10:11], 3, v[14:15]
	v_mov_b32_e32 v12, s43
	v_add_co_u32_e32 v10, vcc, s40, v10
	v_addc_co_u32_e32 v11, vcc, v12, v11, vcc
	global_store_dwordx2 v[10:11], v[18:19], off
.LBB0_47:                               ;   in Loop: Header=BB0_9 Depth=1
	s_or_b64 exec, exec, s[18:19]
.LBB0_48:                               ;   in Loop: Header=BB0_9 Depth=1
	s_and_saveexec_b64 s[18:19], s[10:11]
	s_cbranch_execnz .LBB0_52
; %bb.49:                               ;   in Loop: Header=BB0_9 Depth=1
	s_or_b64 exec, exec, s[18:19]
	s_and_saveexec_b64 s[10:11], s[12:13]
	s_cbranch_execnz .LBB0_53
.LBB0_50:                               ;   in Loop: Header=BB0_9 Depth=1
	s_or_b64 exec, exec, s[10:11]
	s_and_saveexec_b64 s[10:11], s[14:15]
	s_cbranch_execnz .LBB0_54
.LBB0_51:                               ;   in Loop: Header=BB0_9 Depth=1
	s_or_b64 exec, exec, s[10:11]
	s_and_saveexec_b64 s[10:11], s[16:17]
	s_cbranch_execz .LBB0_8
	s_branch .LBB0_55
.LBB0_52:                               ;   in Loop: Header=BB0_9 Depth=1
	v_lshlrev_b64 v[4:5], 3, v[4:5]
	v_mov_b32_e32 v10, s44
	v_add_co_u32_e32 v4, vcc, s41, v4
	v_addc_co_u32_e32 v5, vcc, v10, v5, vcc
	global_store_dwordx2 v[4:5], v[22:23], off
	s_or_b64 exec, exec, s[18:19]
	s_and_saveexec_b64 s[10:11], s[12:13]
	s_cbranch_execz .LBB0_50
.LBB0_53:                               ;   in Loop: Header=BB0_9 Depth=1
	v_lshlrev_b64 v[4:5], 3, v[6:7]
	v_mov_b32_e32 v6, s44
	v_add_co_u32_e32 v4, vcc, s41, v4
	v_addc_co_u32_e32 v5, vcc, v6, v5, vcc
	global_store_dwordx2 v[4:5], v[20:21], off
	s_or_b64 exec, exec, s[10:11]
	s_and_saveexec_b64 s[10:11], s[14:15]
	s_cbranch_execz .LBB0_51
.LBB0_54:                               ;   in Loop: Header=BB0_9 Depth=1
	v_lshlrev_b64 v[4:5], 3, v[8:9]
	v_mov_b32_e32 v6, s44
	v_add_co_u32_e32 v4, vcc, s41, v4
	v_addc_co_u32_e32 v5, vcc, v6, v5, vcc
	global_store_dwordx2 v[4:5], v[24:25], off
	s_or_b64 exec, exec, s[10:11]
	s_and_saveexec_b64 s[10:11], s[16:17]
	s_cbranch_execz .LBB0_8
.LBB0_55:                               ;   in Loop: Header=BB0_9 Depth=1
	v_lshlrev_b64 v[4:5], 3, v[14:15]
	v_mov_b32_e32 v6, s44
	v_add_co_u32_e32 v4, vcc, s41, v4
	v_addc_co_u32_e32 v5, vcc, v6, v5, vcc
	global_store_dwordx2 v[4:5], v[28:29], off
	s_branch .LBB0_8
.LBB0_56:                               ;   in Loop: Header=BB0_9 Depth=1
	v_lshlrev_b64 v[30:31], 3, v[4:5]
	v_mov_b32_e32 v32, s43
	v_add_co_u32_e32 v30, vcc, s40, v30
	v_addc_co_u32_e32 v31, vcc, v32, v31, vcc
	global_store_dwordx2 v[30:31], v[10:11], off
	s_or_b64 exec, exec, s[18:19]
	s_and_saveexec_b64 s[18:19], s[12:13]
	s_cbranch_execz .LBB0_44
.LBB0_57:                               ;   in Loop: Header=BB0_9 Depth=1
	v_lshlrev_b64 v[10:11], 3, v[6:7]
	v_mov_b32_e32 v30, s43
	v_add_co_u32_e32 v10, vcc, s40, v10
	v_addc_co_u32_e32 v11, vcc, v30, v11, vcc
	global_store_dwordx2 v[10:11], v[12:13], off
	s_or_b64 exec, exec, s[18:19]
	s_and_saveexec_b64 s[18:19], s[14:15]
	s_cbranch_execz .LBB0_45
.LBB0_58:                               ;   in Loop: Header=BB0_9 Depth=1
	v_lshlrev_b64 v[10:11], 3, v[8:9]
	v_mov_b32_e32 v12, s43
	v_add_co_u32_e32 v10, vcc, s40, v10
	v_addc_co_u32_e32 v11, vcc, v12, v11, vcc
	global_store_dwordx2 v[10:11], v[16:17], off
	s_or_b64 exec, exec, s[18:19]
	s_and_saveexec_b64 s[18:19], s[16:17]
	s_cbranch_execnz .LBB0_46
	s_branch .LBB0_47
.LBB0_59:
	s_mov_b64 s[8:9], 0
.LBB0_60:
	s_andn2_b64 vcc, exec, s[8:9]
	s_cbranch_vccnz .LBB0_74
; %bb.61:
	v_mov_b32_e32 v29, 0
	v_lshlrev_b32_e32 v28, 2, v0
	v_cmp_gt_i64_e32 vcc, s[24:25], v[28:29]
	s_and_saveexec_b64 s[8:9], vcc
	s_cbranch_execz .LBB0_74
; %bb.62:
	s_load_dword s10, s[4:5], 0xc9c
	s_cmp_lg_u64 s[28:29], 0
	s_cselect_b64 s[8:9], -1, 0
	v_cndmask_b32_e64 v2, 0, 1, s[8:9]
	v_mov_b32_e32 v1, v29
	s_mov_b64 s[12:13], 0
	v_cmp_neq_f64_e64 s[4:5], s[20:21], 0
	v_add_f64 v[30:31], -s[30:31], 1.0
	s_waitcnt lgkmcnt(0)
	s_and_b32 s14, s10, 0xffff
	v_mov_b32_e32 v38, s42
	v_mov_b32_e32 v39, s43
	;; [unrolled: 1-line block ×3, first 2 shown]
	v_cmp_ne_u32_e64 s[8:9], 1, v2
	s_movk_i32 s15, 0x3fff
	s_branch .LBB0_64
.LBB0_63:                               ;   in Loop: Header=BB0_64 Depth=1
	v_add_u32_e32 v28, s14, v0
	v_lshlrev_b64 v[0:1], 2, v[28:29]
	v_cmp_le_u64_e32 vcc, s[24:25], v[0:1]
	v_cmp_lt_u32_e64 s[10:11], s15, v28
	s_or_b64 s[10:11], s[10:11], vcc
	s_and_b64 s[10:11], exec, s[10:11]
	s_or_b64 s[12:13], s[10:11], s[12:13]
	v_pk_mov_b32 v[0:1], v[28:29], v[28:29] op_sel:[0,1]
	global_store_dwordx4 v[32:33], v[22:25], off
	global_store_dwordx4 v[32:33], v[14:17], off offset:16
	s_andn2_b64 exec, exec, s[12:13]
	s_cbranch_execz .LBB0_74
.LBB0_64:                               ; =>This Inner Loop Header: Depth=1
	v_lshlrev_b64 v[14:15], 5, v[0:1]
	v_add_co_u32_e32 v36, vcc, s33, v14
	v_addc_co_u32_e32 v37, vcc, v38, v15, vcc
	v_add_co_u32_e32 v34, vcc, s40, v14
	v_addc_co_u32_e32 v35, vcc, v39, v15, vcc
	;; [unrolled: 2-line block ×3, first 2 shown]
	global_load_dwordx4 v[10:13], v[36:37], off offset:16
	global_load_dwordx4 v[18:21], v[36:37], off
	global_load_dwordx4 v[2:5], v[34:35], off offset:16
	global_load_dwordx4 v[6:9], v[34:35], off
	;; [unrolled: 2-line block ×3, first 2 shown]
	s_and_b64 vcc, exec, s[8:9]
	s_cbranch_vccnz .LBB0_66
; %bb.65:                               ;   in Loop: Header=BB0_64 Depth=1
	global_load_dword v1, v29, s[28:29]
	s_waitcnt vmcnt(0)
	v_cvt_f64_f32_e32 v[42:43], v1
	v_div_scale_f64 v[44:45], s[10:11], v[42:43], v[42:43], v[6:7]
	v_rcp_f64_e32 v[46:47], v[44:45]
	v_div_scale_f64 v[48:49], vcc, v[6:7], v[42:43], v[6:7]
	v_fma_f64 v[50:51], -v[44:45], v[46:47], 1.0
	v_fmac_f64_e32 v[46:47], v[46:47], v[50:51]
	v_fma_f64 v[50:51], -v[44:45], v[46:47], 1.0
	v_fmac_f64_e32 v[46:47], v[46:47], v[50:51]
	v_mul_f64 v[50:51], v[48:49], v[46:47]
	v_fma_f64 v[44:45], -v[44:45], v[50:51], v[48:49]
	v_div_fmas_f64 v[44:45], v[44:45], v[46:47], v[50:51]
	v_div_fixup_f64 v[6:7], v[44:45], v[42:43], v[6:7]
.LBB0_66:                               ;   in Loop: Header=BB0_64 Depth=1
	s_and_b64 vcc, exec, s[8:9]
	s_cbranch_vccnz .LBB0_68
; %bb.67:                               ;   in Loop: Header=BB0_64 Depth=1
	global_load_dword v1, v29, s[28:29]
	s_waitcnt vmcnt(0)
	v_cvt_f64_f32_e32 v[42:43], v1
	v_div_scale_f64 v[44:45], s[10:11], v[42:43], v[42:43], v[8:9]
	v_rcp_f64_e32 v[46:47], v[44:45]
	v_div_scale_f64 v[48:49], vcc, v[8:9], v[42:43], v[8:9]
	v_fma_f64 v[50:51], -v[44:45], v[46:47], 1.0
	v_fmac_f64_e32 v[46:47], v[46:47], v[50:51]
	v_fma_f64 v[50:51], -v[44:45], v[46:47], 1.0
	v_fmac_f64_e32 v[46:47], v[46:47], v[50:51]
	v_mul_f64 v[50:51], v[48:49], v[46:47]
	v_fma_f64 v[44:45], -v[44:45], v[50:51], v[48:49]
	v_div_fmas_f64 v[44:45], v[44:45], v[46:47], v[50:51]
	v_div_fixup_f64 v[8:9], v[44:45], v[42:43], v[8:9]
.LBB0_68:                               ;   in Loop: Header=BB0_64 Depth=1
	;; [unrolled: 18-line block ×4, first 2 shown]
	s_waitcnt vmcnt(3)
	v_xor_b32_e32 v1, 0x80000000, v3
	v_cndmask_b32_e64 v43, v3, v1, s[2:3]
	v_cndmask_b32_e64 v42, v2, v2, s[2:3]
	v_pk_mov_b32 v[44:45], v[42:43], v[42:43] op_sel:[0,1]
	v_fmac_f64_e32 v[44:45], s[20:21], v[10:11]
	v_cndmask_b32_e64 v43, v43, v45, s[4:5]
	v_cndmask_b32_e64 v42, v42, v44, s[4:5]
	v_mul_f64 v[44:45], v[30:31], v[42:43]
	s_waitcnt vmcnt(1)
	v_fmac_f64_e32 v[44:45], s[22:23], v[14:15]
	v_cndmask_b32_e64 v15, v45, v43, s[6:7]
	v_cndmask_b32_e64 v14, v44, v42, s[6:7]
	v_fmac_f64_e32 v[42:43], s[22:23], v[14:15]
	v_cndmask_b32_e64 v43, v15, v43, s[0:1]
	v_cndmask_b32_e64 v42, v14, v42, s[0:1]
	v_xor_b32_e32 v1, 0x80000000, v9
	v_fma_f64 v[10:11], -v[26:27], v[42:43], v[10:11]
	v_cndmask_b32_e64 v43, v9, v1, s[2:3]
	v_cndmask_b32_e64 v42, v8, v8, s[2:3]
	v_pk_mov_b32 v[44:45], v[42:43], v[42:43] op_sel:[0,1]
	v_fmac_f64_e32 v[44:45], s[20:21], v[20:21]
	v_cndmask_b32_e64 v43, v43, v45, s[4:5]
	v_cndmask_b32_e64 v42, v42, v44, s[4:5]
	v_mul_f64 v[44:45], v[30:31], v[42:43]
	s_waitcnt vmcnt(0)
	v_fmac_f64_e32 v[44:45], s[22:23], v[24:25]
	v_cndmask_b32_e64 v25, v45, v43, s[6:7]
	v_cndmask_b32_e64 v24, v44, v42, s[6:7]
	v_fmac_f64_e32 v[42:43], s[22:23], v[24:25]
	v_cndmask_b32_e64 v43, v25, v43, s[0:1]
	v_cndmask_b32_e64 v42, v24, v42, s[0:1]
	v_xor_b32_e32 v1, 0x80000000, v7
	v_fma_f64 v[20:21], -v[26:27], v[42:43], v[20:21]
	v_cndmask_b32_e64 v43, v7, v1, s[2:3]
	v_cndmask_b32_e64 v42, v6, v6, s[2:3]
	v_pk_mov_b32 v[44:45], v[42:43], v[42:43] op_sel:[0,1]
	v_fmac_f64_e32 v[44:45], s[20:21], v[18:19]
	v_cndmask_b32_e64 v43, v43, v45, s[4:5]
	v_cndmask_b32_e64 v42, v42, v44, s[4:5]
	v_mul_f64 v[44:45], v[30:31], v[42:43]
	v_fmac_f64_e32 v[44:45], s[22:23], v[22:23]
	v_cndmask_b32_e64 v23, v45, v43, s[6:7]
	v_cndmask_b32_e64 v22, v44, v42, s[6:7]
	v_fmac_f64_e32 v[42:43], s[22:23], v[22:23]
	v_cndmask_b32_e64 v43, v23, v43, s[0:1]
	v_cndmask_b32_e64 v42, v22, v42, s[0:1]
	v_xor_b32_e32 v1, 0x80000000, v5
	v_fma_f64 v[18:19], -v[26:27], v[42:43], v[18:19]
	v_cndmask_b32_e64 v43, v5, v1, s[2:3]
	v_cndmask_b32_e64 v42, v4, v4, s[2:3]
	v_pk_mov_b32 v[44:45], v[42:43], v[42:43] op_sel:[0,1]
	v_fmac_f64_e32 v[44:45], s[20:21], v[12:13]
	v_cndmask_b32_e64 v43, v43, v45, s[4:5]
	v_cndmask_b32_e64 v42, v42, v44, s[4:5]
	v_mul_f64 v[44:45], v[30:31], v[42:43]
	v_fmac_f64_e32 v[44:45], s[22:23], v[16:17]
	v_cndmask_b32_e64 v17, v45, v43, s[6:7]
	v_cndmask_b32_e64 v16, v44, v42, s[6:7]
	v_fmac_f64_e32 v[42:43], s[22:23], v[16:17]
	v_cndmask_b32_e64 v43, v17, v43, s[0:1]
	v_cndmask_b32_e64 v42, v16, v42, s[0:1]
	v_fma_f64 v[12:13], -v[26:27], v[42:43], v[12:13]
	s_and_b64 vcc, exec, s[8:9]
	global_store_dwordx4 v[36:37], v[18:21], off
	global_store_dwordx4 v[36:37], v[10:13], off offset:16
	s_cbranch_vccnz .LBB0_63
; %bb.73:                               ;   in Loop: Header=BB0_64 Depth=1
	global_store_dwordx4 v[34:35], v[6:9], off
	global_store_dwordx4 v[34:35], v[2:5], off offset:16
	s_branch .LBB0_63
.LBB0_74:
	s_endpgm
	.section	.rodata,"a",@progbits
	.p2align	6, 0x0
	.amdhsa_kernel _ZN2at6native12_GLOBAL__N_125multi_tensor_apply_kernelINS1_18TensorListMetadataILi3EEENS1_19FusedSgdMathFunctorIdLi3EEEJddPfddbbbS7_S7_EEEvT_T0_DpT1_
		.amdhsa_group_segment_fixed_size 0
		.amdhsa_private_segment_fixed_size 0
		.amdhsa_kernarg_size 3472
		.amdhsa_user_sgpr_count 6
		.amdhsa_user_sgpr_private_segment_buffer 1
		.amdhsa_user_sgpr_dispatch_ptr 0
		.amdhsa_user_sgpr_queue_ptr 0
		.amdhsa_user_sgpr_kernarg_segment_ptr 1
		.amdhsa_user_sgpr_dispatch_id 0
		.amdhsa_user_sgpr_flat_scratch_init 0
		.amdhsa_user_sgpr_kernarg_preload_length 0
		.amdhsa_user_sgpr_kernarg_preload_offset 0
		.amdhsa_user_sgpr_private_segment_size 0
		.amdhsa_uses_dynamic_stack 0
		.amdhsa_system_sgpr_private_segment_wavefront_offset 0
		.amdhsa_system_sgpr_workgroup_id_x 1
		.amdhsa_system_sgpr_workgroup_id_y 0
		.amdhsa_system_sgpr_workgroup_id_z 0
		.amdhsa_system_sgpr_workgroup_info 0
		.amdhsa_system_vgpr_workitem_id 0
		.amdhsa_next_free_vgpr 52
		.amdhsa_next_free_sgpr 50
		.amdhsa_accum_offset 52
		.amdhsa_reserve_vcc 1
		.amdhsa_reserve_flat_scratch 0
		.amdhsa_float_round_mode_32 0
		.amdhsa_float_round_mode_16_64 0
		.amdhsa_float_denorm_mode_32 3
		.amdhsa_float_denorm_mode_16_64 3
		.amdhsa_dx10_clamp 1
		.amdhsa_ieee_mode 1
		.amdhsa_fp16_overflow 0
		.amdhsa_tg_split 0
		.amdhsa_exception_fp_ieee_invalid_op 0
		.amdhsa_exception_fp_denorm_src 0
		.amdhsa_exception_fp_ieee_div_zero 0
		.amdhsa_exception_fp_ieee_overflow 0
		.amdhsa_exception_fp_ieee_underflow 0
		.amdhsa_exception_fp_ieee_inexact 0
		.amdhsa_exception_int_div_zero 0
	.end_amdhsa_kernel
	.section	.text._ZN2at6native12_GLOBAL__N_125multi_tensor_apply_kernelINS1_18TensorListMetadataILi3EEENS1_19FusedSgdMathFunctorIdLi3EEEJddPfddbbbS7_S7_EEEvT_T0_DpT1_,"axG",@progbits,_ZN2at6native12_GLOBAL__N_125multi_tensor_apply_kernelINS1_18TensorListMetadataILi3EEENS1_19FusedSgdMathFunctorIdLi3EEEJddPfddbbbS7_S7_EEEvT_T0_DpT1_,comdat
.Lfunc_end0:
	.size	_ZN2at6native12_GLOBAL__N_125multi_tensor_apply_kernelINS1_18TensorListMetadataILi3EEENS1_19FusedSgdMathFunctorIdLi3EEEJddPfddbbbS7_S7_EEEvT_T0_DpT1_, .Lfunc_end0-_ZN2at6native12_GLOBAL__N_125multi_tensor_apply_kernelINS1_18TensorListMetadataILi3EEENS1_19FusedSgdMathFunctorIdLi3EEEJddPfddbbbS7_S7_EEEvT_T0_DpT1_
                                        ; -- End function
	.section	.AMDGPU.csdata,"",@progbits
; Kernel info:
; codeLenInByte = 3652
; NumSgprs: 54
; NumVgprs: 52
; NumAgprs: 0
; TotalNumVgprs: 52
; ScratchSize: 0
; MemoryBound: 1
; FloatMode: 240
; IeeeMode: 1
; LDSByteSize: 0 bytes/workgroup (compile time only)
; SGPRBlocks: 6
; VGPRBlocks: 6
; NumSGPRsForWavesPerEU: 54
; NumVGPRsForWavesPerEU: 52
; AccumOffset: 52
; Occupancy: 8
; WaveLimiterHint : 0
; COMPUTE_PGM_RSRC2:SCRATCH_EN: 0
; COMPUTE_PGM_RSRC2:USER_SGPR: 6
; COMPUTE_PGM_RSRC2:TRAP_HANDLER: 0
; COMPUTE_PGM_RSRC2:TGID_X_EN: 1
; COMPUTE_PGM_RSRC2:TGID_Y_EN: 0
; COMPUTE_PGM_RSRC2:TGID_Z_EN: 0
; COMPUTE_PGM_RSRC2:TIDIG_COMP_CNT: 0
; COMPUTE_PGM_RSRC3_GFX90A:ACCUM_OFFSET: 12
; COMPUTE_PGM_RSRC3_GFX90A:TG_SPLIT: 0
	.section	.text._ZN2at6native12_GLOBAL__N_125multi_tensor_apply_kernelINS1_18TensorListMetadataILi3EEENS1_19FusedSgdMathFunctorIfLi3EEEJddPfddbbbS7_S7_EEEvT_T0_DpT1_,"axG",@progbits,_ZN2at6native12_GLOBAL__N_125multi_tensor_apply_kernelINS1_18TensorListMetadataILi3EEENS1_19FusedSgdMathFunctorIfLi3EEEJddPfddbbbS7_S7_EEEvT_T0_DpT1_,comdat
	.globl	_ZN2at6native12_GLOBAL__N_125multi_tensor_apply_kernelINS1_18TensorListMetadataILi3EEENS1_19FusedSgdMathFunctorIfLi3EEEJddPfddbbbS7_S7_EEEvT_T0_DpT1_ ; -- Begin function _ZN2at6native12_GLOBAL__N_125multi_tensor_apply_kernelINS1_18TensorListMetadataILi3EEENS1_19FusedSgdMathFunctorIfLi3EEEJddPfddbbbS7_S7_EEEvT_T0_DpT1_
	.p2align	8
	.type	_ZN2at6native12_GLOBAL__N_125multi_tensor_apply_kernelINS1_18TensorListMetadataILi3EEENS1_19FusedSgdMathFunctorIfLi3EEEJddPfddbbbS7_S7_EEEvT_T0_DpT1_,@function
_ZN2at6native12_GLOBAL__N_125multi_tensor_apply_kernelINS1_18TensorListMetadataILi3EEENS1_19FusedSgdMathFunctorIfLi3EEEJddPfddbbbS7_S7_EEEvT_T0_DpT1_: ; @_ZN2at6native12_GLOBAL__N_125multi_tensor_apply_kernelINS1_18TensorListMetadataILi3EEENS1_19FusedSgdMathFunctorIfLi3EEEJddPfddbbbS7_S7_EEEvT_T0_DpT1_
; %bb.0:
	s_load_dwordx4 s[20:23], s[4:5], 0xc80
	s_waitcnt lgkmcnt(0)
	s_cmp_eq_u64 s[22:23], 0
	s_cselect_b64 s[0:1], -1, 0
	s_and_b64 vcc, exec, s[0:1]
	s_cbranch_vccnz .LBB1_2
; %bb.1:
	s_load_dword s0, s[22:23], 0x0
	s_waitcnt lgkmcnt(0)
	v_cmp_neq_f32_e64 s[0:1], s0, 1.0
.LBB1_2:
	s_andn2_b64 vcc, exec, s[0:1]
	s_cbranch_vccnz .LBB1_75
; %bb.3:
	v_mov_b32_e32 v1, s6
	global_load_ubyte v1, v1, s[4:5] offset:1536
	s_load_dwordx2 s[16:17], s[4:5], 0xc70
	s_load_dwordx8 s[8:15], s[4:5], 0xc50
	s_add_u32 s0, s4, s6
	s_mul_hi_u32 s1, s6, 3
	s_mul_i32 s6, s6, 3
	s_addc_u32 s2, s5, 0
	s_add_u32 s0, s0, s6
	s_addc_u32 s1, s2, s1
	s_waitcnt lgkmcnt(0)
	s_cmp_eq_u64 s[12:13], 0
	s_mov_b64 s[2:3], 0
	s_waitcnt vmcnt(0)
	v_readfirstlane_b32 s7, v1
	s_cbranch_scc1 .LBB1_76
; %bb.4:
	s_load_dword s12, s[12:13], 0x0
	s_nop 0
	s_load_dword s6, s[0:1], 0x740
	s_andn2_b64 vcc, exec, s[2:3]
	s_waitcnt lgkmcnt(0)
	v_mov_b32_e32 v22, s12
	s_cbranch_vccnz .LBB1_6
.LBB1_5:
	v_cvt_f32_f64_e32 v22, s[14:15]
.LBB1_6:
	s_load_dword s2, s[4:5], 0xc78
	v_cvt_f32_f64_e32 v23, s[8:9]
	v_cvt_f32_f64_e32 v24, s[10:11]
	;; [unrolled: 1-line block ×3, first 2 shown]
	s_waitcnt lgkmcnt(0)
	s_bitcmp1_b32 s2, 0
	s_cselect_b64 s[0:1], -1, 0
	s_bitcmp1_b32 s2, 8
	s_cselect_b64 s[18:19], -1, 0
	;; [unrolled: 2-line block ×3, first 2 shown]
	s_and_b32 s7, s7, 0xff
	s_lshl_b32 s22, s7, 3
	s_load_dwordx2 s[8:9], s[4:5], s22 offset:0x480
	s_ashr_i32 s7, s6, 31
	s_lshl_b64 s[10:11], s[6:7], 16
	s_load_dwordx2 s[12:13], s[4:5], s22 offset:0x0
	s_load_dwordx2 s[14:15], s[4:5], s22 offset:0x180
	;; [unrolled: 1-line block ×3, first 2 shown]
	s_waitcnt lgkmcnt(0)
	s_sub_u32 s22, s8, s10
	s_subb_u32 s23, s9, s11
	s_lshl_b64 s[6:7], s[6:7], 18
	s_add_u32 s33, s12, s6
	s_addc_u32 s36, s13, s7
	s_and_b32 s9, s33, 15
	s_add_u32 s34, s14, s6
	s_addc_u32 s37, s15, s7
	s_and_b32 s10, s34, 15
	;; [unrolled: 3-line block ×3, first 2 shown]
	s_and_b32 s7, s8, 3
	s_or_b32 s6, s7, s6
	s_or_b32 s6, s6, s10
	;; [unrolled: 1-line block ×3, first 2 shown]
	s_mov_b32 s7, 0
	s_cmp_eq_u64 s[6:7], 0
	s_mov_b64 s[6:7], -1
	s_cbranch_scc1 .LBB1_61
; %bb.7:
	v_cmp_lt_i64_e64 s[6:7], s[22:23], 1
	s_and_b64 vcc, exec, s[6:7]
	s_cbranch_vccnz .LBB1_60
; %bb.8:
	s_load_dword s9, s[4:5], 0xc9c
	v_mov_b32_e32 v2, 0x10000
	v_mov_b32_e32 v3, 0
	v_cmp_lt_i64_e32 vcc, s[22:23], v[2:3]
	s_and_b64 s[6:7], vcc, exec
	s_cselect_b32 s25, s23, 0
	s_cselect_b32 s24, s22, 0x10000
	s_waitcnt lgkmcnt(0)
	s_and_b32 s39, s9, 0xffff
	s_lshl_b32 s40, s39, 1
	s_mov_b32 s8, 0
	s_cmp_lg_u64 s[20:21], 0
	v_mov_b32_e32 v1, 0
	s_mul_i32 s41, s39, 3
	s_mov_b64 s[26:27], 0
	s_cselect_b64 s[28:29], -1, 0
	v_cmp_neq_f32_e64 s[6:7], 0, v23
	v_sub_f32_e32 v11, 1.0, v10
	s_lshl_b32 s42, s39, 2
	v_mov_b32_e32 v12, s8
	v_mov_b32_e32 v13, s8
	;; [unrolled: 1-line block ×3, first 2 shown]
	s_branch .LBB1_10
.LBB1_9:                                ;   in Loop: Header=BB1_10 Depth=1
	s_or_b64 exec, exec, s[8:9]
	s_add_i32 s26, s26, s42
	s_ashr_i32 s27, s26, 31
	v_pk_mov_b32 v[2:3], s[24:25], s[24:25] op_sel:[0,1]
	v_cmp_lt_i64_e32 vcc, s[26:27], v[2:3]
	s_cbranch_vccz .LBB1_60
.LBB1_10:                               ; =>This Inner Loop Header: Depth=1
	v_mov_b32_e32 v3, s27
	v_add_co_u32_e32 v2, vcc, s26, v0
	v_addc_co_u32_e32 v3, vcc, 0, v3, vcc
	v_cmp_gt_i64_e64 s[8:9], s[24:25], v[2:3]
	v_mov_b32_e32 v18, 0
	v_mov_b32_e32 v15, 0
	s_and_saveexec_b64 s[10:11], s[8:9]
	s_cbranch_execz .LBB1_12
; %bb.11:                               ;   in Loop: Header=BB1_10 Depth=1
	v_lshlrev_b64 v[4:5], 2, v[2:3]
	v_mov_b32_e32 v7, s37
	v_add_co_u32_e32 v6, vcc, s34, v4
	v_addc_co_u32_e32 v7, vcc, v7, v5, vcc
	v_mov_b32_e32 v8, s36
	v_add_co_u32_e32 v4, vcc, s33, v4
	v_addc_co_u32_e32 v5, vcc, v8, v5, vcc
	global_load_dword v18, v[4:5], off
	global_load_dword v15, v[6:7], off
.LBB1_12:                               ;   in Loop: Header=BB1_10 Depth=1
	s_or_b64 exec, exec, s[10:11]
	v_mov_b32_e32 v19, 0
	v_mov_b32_e32 v25, 0
	s_and_saveexec_b64 s[10:11], s[8:9]
	s_cbranch_execz .LBB1_14
; %bb.13:                               ;   in Loop: Header=BB1_10 Depth=1
	v_lshlrev_b64 v[4:5], 2, v[2:3]
	v_mov_b32_e32 v6, s38
	v_add_co_u32_e32 v4, vcc, s35, v4
	v_addc_co_u32_e32 v5, vcc, v6, v5, vcc
	global_load_dword v25, v[4:5], off
.LBB1_14:                               ;   in Loop: Header=BB1_10 Depth=1
	s_or_b64 exec, exec, s[10:11]
	v_add_co_u32_e32 v4, vcc, s39, v2
	v_addc_co_u32_e32 v5, vcc, v3, v12, vcc
	v_cmp_gt_i64_e64 s[10:11], s[24:25], v[4:5]
	v_mov_b32_e32 v16, 0
	s_and_saveexec_b64 s[12:13], s[10:11]
	s_cbranch_execz .LBB1_16
; %bb.15:                               ;   in Loop: Header=BB1_10 Depth=1
	v_lshlrev_b64 v[6:7], 2, v[4:5]
	v_mov_b32_e32 v9, s37
	v_add_co_u32_e32 v8, vcc, s34, v6
	v_addc_co_u32_e32 v9, vcc, v9, v7, vcc
	v_mov_b32_e32 v16, s36
	v_add_co_u32_e32 v6, vcc, s33, v6
	v_addc_co_u32_e32 v7, vcc, v16, v7, vcc
	global_load_dword v19, v[6:7], off
	global_load_dword v16, v[8:9], off
.LBB1_16:                               ;   in Loop: Header=BB1_10 Depth=1
	s_or_b64 exec, exec, s[12:13]
	v_mov_b32_e32 v21, 0
	v_mov_b32_e32 v27, 0
	s_and_saveexec_b64 s[12:13], s[10:11]
	s_cbranch_execz .LBB1_18
; %bb.17:                               ;   in Loop: Header=BB1_10 Depth=1
	v_lshlrev_b64 v[6:7], 2, v[4:5]
	v_mov_b32_e32 v8, s38
	v_add_co_u32_e32 v6, vcc, s35, v6
	v_addc_co_u32_e32 v7, vcc, v8, v7, vcc
	global_load_dword v27, v[6:7], off
.LBB1_18:                               ;   in Loop: Header=BB1_10 Depth=1
	s_or_b64 exec, exec, s[12:13]
	v_add_co_u32_e32 v6, vcc, s40, v2
	v_addc_co_u32_e32 v7, vcc, v3, v13, vcc
	v_cmp_gt_i64_e64 s[12:13], s[24:25], v[6:7]
	;; [unrolled: 30-line block ×3, first 2 shown]
	v_mov_b32_e32 v20, 0
	s_and_saveexec_b64 s[16:17], s[14:15]
	s_cbranch_execz .LBB1_24
; %bb.23:                               ;   in Loop: Header=BB1_10 Depth=1
	v_lshlrev_b64 v[30:31], 2, v[8:9]
	v_mov_b32_e32 v20, s37
	v_add_co_u32_e32 v32, vcc, s34, v30
	v_addc_co_u32_e32 v33, vcc, v20, v31, vcc
	v_mov_b32_e32 v20, s36
	v_add_co_u32_e32 v30, vcc, s33, v30
	v_addc_co_u32_e32 v31, vcc, v20, v31, vcc
	global_load_dword v26, v[30:31], off
	global_load_dword v20, v[32:33], off
.LBB1_24:                               ;   in Loop: Header=BB1_10 Depth=1
	s_or_b64 exec, exec, s[16:17]
	v_mov_b32_e32 v29, 0
	s_and_saveexec_b64 s[16:17], s[14:15]
	s_cbranch_execz .LBB1_26
; %bb.25:                               ;   in Loop: Header=BB1_10 Depth=1
	v_lshlrev_b64 v[30:31], 2, v[8:9]
	v_mov_b32_e32 v29, s38
	v_add_co_u32_e32 v30, vcc, s35, v30
	v_addc_co_u32_e32 v31, vcc, v29, v31, vcc
	global_load_dword v29, v[30:31], off
.LBB1_26:                               ;   in Loop: Header=BB1_10 Depth=1
	s_or_b64 exec, exec, s[16:17]
	v_cndmask_b32_e64 v30, 0, 1, s[28:29]
	v_cmp_ne_u32_e64 s[16:17], 1, v30
	s_andn2_b64 vcc, exec, s[28:29]
	s_cbranch_vccnz .LBB1_28
; %bb.27:                               ;   in Loop: Header=BB1_10 Depth=1
	global_load_dword v30, v1, s[20:21]
	s_waitcnt vmcnt(0)
	v_div_scale_f32 v31, s[30:31], v30, v30, v15
	v_rcp_f32_e32 v32, v31
	v_div_scale_f32 v33, vcc, v15, v30, v15
	v_fma_f32 v34, -v31, v32, 1.0
	v_fmac_f32_e32 v32, v34, v32
	v_mul_f32_e32 v34, v33, v32
	v_fma_f32 v35, -v31, v34, v33
	v_fmac_f32_e32 v34, v35, v32
	v_fma_f32 v31, -v31, v34, v33
	v_div_fmas_f32 v31, v31, v32, v34
	v_div_fixup_f32 v15, v31, v30, v15
.LBB1_28:                               ;   in Loop: Header=BB1_10 Depth=1
	s_and_b64 vcc, exec, s[16:17]
	s_cbranch_vccnz .LBB1_30
; %bb.29:                               ;   in Loop: Header=BB1_10 Depth=1
	global_load_dword v30, v1, s[20:21]
	s_waitcnt vmcnt(0)
	v_div_scale_f32 v31, s[30:31], v30, v30, v16
	v_rcp_f32_e32 v32, v31
	v_div_scale_f32 v33, vcc, v16, v30, v16
	v_fma_f32 v34, -v31, v32, 1.0
	v_fmac_f32_e32 v32, v34, v32
	v_mul_f32_e32 v34, v33, v32
	v_fma_f32 v35, -v31, v34, v33
	v_fmac_f32_e32 v34, v35, v32
	v_fma_f32 v31, -v31, v34, v33
	v_div_fmas_f32 v31, v31, v32, v34
	v_div_fixup_f32 v16, v31, v30, v16
.LBB1_30:                               ;   in Loop: Header=BB1_10 Depth=1
	s_and_b64 vcc, exec, s[16:17]
	;; [unrolled: 17-line block ×3, first 2 shown]
	s_cbranch_vccnz .LBB1_34
; %bb.33:                               ;   in Loop: Header=BB1_10 Depth=1
	global_load_dword v30, v1, s[20:21]
	s_waitcnt vmcnt(0)
	v_div_scale_f32 v31, s[30:31], v30, v30, v20
	v_rcp_f32_e32 v32, v31
	v_div_scale_f32 v33, vcc, v20, v30, v20
	v_fma_f32 v34, -v31, v32, 1.0
	v_fmac_f32_e32 v32, v34, v32
	v_mul_f32_e32 v34, v33, v32
	v_fma_f32 v35, -v31, v34, v33
	v_fmac_f32_e32 v34, v35, v32
	v_fma_f32 v31, -v31, v34, v33
	v_div_fmas_f32 v31, v31, v32, v34
	v_div_fixup_f32 v20, v31, v30, v20
.LBB1_34:                               ;   in Loop: Header=BB1_10 Depth=1
	s_waitcnt vmcnt(0)
	v_cndmask_b32_e64 v30, v15, -v15, s[18:19]
	v_fma_f32 v31, v18, v23, v30
	v_cndmask_b32_e64 v30, v30, v31, s[6:7]
	v_mul_f32_e32 v31, v11, v30
	v_fmac_f32_e32 v31, v25, v24
	v_cndmask_b32_e64 v25, v31, v30, s[2:3]
	s_and_saveexec_b64 s[30:31], s[8:9]
	s_cbranch_execz .LBB1_36
; %bb.35:                               ;   in Loop: Header=BB1_10 Depth=1
	v_fmac_f32_e32 v30, v25, v24
	v_cndmask_b32_e64 v30, v25, v30, s[0:1]
	v_fma_f32 v18, -v22, v30, v18
	v_lshlrev_b64 v[30:31], 2, v[2:3]
	v_mov_b32_e32 v32, s36
	v_add_co_u32_e32 v30, vcc, s33, v30
	v_addc_co_u32_e32 v31, vcc, v32, v31, vcc
	global_store_dword v[30:31], v18, off
.LBB1_36:                               ;   in Loop: Header=BB1_10 Depth=1
	s_or_b64 exec, exec, s[30:31]
	v_cndmask_b32_e64 v18, v16, -v16, s[18:19]
	v_fma_f32 v30, v19, v23, v18
	v_cndmask_b32_e64 v30, v18, v30, s[6:7]
	v_mul_f32_e32 v18, v11, v30
	v_fmac_f32_e32 v18, v27, v24
	v_cndmask_b32_e64 v18, v18, v30, s[2:3]
	s_and_saveexec_b64 s[30:31], s[10:11]
	s_cbranch_execz .LBB1_38
; %bb.37:                               ;   in Loop: Header=BB1_10 Depth=1
	v_fmac_f32_e32 v30, v18, v24
	v_cndmask_b32_e64 v27, v18, v30, s[0:1]
	v_lshlrev_b64 v[30:31], 2, v[4:5]
	v_fma_f32 v19, -v22, v27, v19
	v_mov_b32_e32 v27, s36
	v_add_co_u32_e32 v30, vcc, s33, v30
	v_addc_co_u32_e32 v31, vcc, v27, v31, vcc
	global_store_dword v[30:31], v19, off
.LBB1_38:                               ;   in Loop: Header=BB1_10 Depth=1
	s_or_b64 exec, exec, s[30:31]
	v_cndmask_b32_e64 v19, v17, -v17, s[18:19]
	v_fma_f32 v27, v21, v23, v19
	v_cndmask_b32_e64 v27, v19, v27, s[6:7]
	v_mul_f32_e32 v19, v11, v27
	v_fmac_f32_e32 v19, v28, v24
	v_cndmask_b32_e64 v19, v19, v27, s[2:3]
	s_and_saveexec_b64 s[30:31], s[12:13]
	s_cbranch_execz .LBB1_40
; %bb.39:                               ;   in Loop: Header=BB1_10 Depth=1
	v_fmac_f32_e32 v27, v19, v24
	v_cndmask_b32_e64 v27, v19, v27, s[0:1]
	v_lshlrev_b64 v[30:31], 2, v[6:7]
	v_fma_f32 v21, -v22, v27, v21
	v_mov_b32_e32 v27, s36
	v_add_co_u32_e32 v30, vcc, s33, v30
	v_addc_co_u32_e32 v31, vcc, v27, v31, vcc
	global_store_dword v[30:31], v21, off
.LBB1_40:                               ;   in Loop: Header=BB1_10 Depth=1
	s_or_b64 exec, exec, s[30:31]
	v_cndmask_b32_e64 v21, v20, -v20, s[18:19]
	v_fma_f32 v27, v26, v23, v21
	v_cndmask_b32_e64 v27, v21, v27, s[6:7]
	v_mul_f32_e32 v21, v11, v27
	v_fmac_f32_e32 v21, v29, v24
	v_cndmask_b32_e64 v21, v21, v27, s[2:3]
	s_and_saveexec_b64 s[30:31], s[14:15]
	s_cbranch_execz .LBB1_42
; %bb.41:                               ;   in Loop: Header=BB1_10 Depth=1
	v_fmac_f32_e32 v27, v21, v24
	v_cndmask_b32_e64 v27, v21, v27, s[0:1]
	v_fma_f32 v28, -v22, v27, v26
	v_lshlrev_b64 v[26:27], 2, v[8:9]
	v_mov_b32_e32 v29, s36
	v_add_co_u32_e32 v26, vcc, s33, v26
	v_addc_co_u32_e32 v27, vcc, v29, v27, vcc
	global_store_dword v[26:27], v28, off
.LBB1_42:                               ;   in Loop: Header=BB1_10 Depth=1
	s_or_b64 exec, exec, s[30:31]
	s_and_b64 vcc, exec, s[16:17]
	s_cbranch_vccnz .LBB1_49
; %bb.43:                               ;   in Loop: Header=BB1_10 Depth=1
	s_and_saveexec_b64 s[16:17], s[8:9]
	s_cbranch_execnz .LBB1_57
; %bb.44:                               ;   in Loop: Header=BB1_10 Depth=1
	s_or_b64 exec, exec, s[16:17]
	s_and_saveexec_b64 s[16:17], s[10:11]
	s_cbranch_execnz .LBB1_58
.LBB1_45:                               ;   in Loop: Header=BB1_10 Depth=1
	s_or_b64 exec, exec, s[16:17]
	s_and_saveexec_b64 s[16:17], s[12:13]
	s_cbranch_execnz .LBB1_59
.LBB1_46:                               ;   in Loop: Header=BB1_10 Depth=1
	s_or_b64 exec, exec, s[16:17]
	s_and_saveexec_b64 s[16:17], s[14:15]
	s_cbranch_execz .LBB1_48
.LBB1_47:                               ;   in Loop: Header=BB1_10 Depth=1
	v_lshlrev_b64 v[16:17], 2, v[8:9]
	v_mov_b32_e32 v15, s37
	v_add_co_u32_e32 v16, vcc, s34, v16
	v_addc_co_u32_e32 v17, vcc, v15, v17, vcc
	global_store_dword v[16:17], v20, off
.LBB1_48:                               ;   in Loop: Header=BB1_10 Depth=1
	s_or_b64 exec, exec, s[16:17]
.LBB1_49:                               ;   in Loop: Header=BB1_10 Depth=1
	s_and_saveexec_b64 s[16:17], s[8:9]
	s_cbranch_execnz .LBB1_53
; %bb.50:                               ;   in Loop: Header=BB1_10 Depth=1
	s_or_b64 exec, exec, s[16:17]
	s_and_saveexec_b64 s[8:9], s[10:11]
	s_cbranch_execnz .LBB1_54
.LBB1_51:                               ;   in Loop: Header=BB1_10 Depth=1
	s_or_b64 exec, exec, s[8:9]
	s_and_saveexec_b64 s[8:9], s[12:13]
	s_cbranch_execnz .LBB1_55
.LBB1_52:                               ;   in Loop: Header=BB1_10 Depth=1
	s_or_b64 exec, exec, s[8:9]
	s_and_saveexec_b64 s[8:9], s[14:15]
	s_cbranch_execz .LBB1_9
	s_branch .LBB1_56
.LBB1_53:                               ;   in Loop: Header=BB1_10 Depth=1
	v_lshlrev_b64 v[2:3], 2, v[2:3]
	v_mov_b32_e32 v15, s38
	v_add_co_u32_e32 v2, vcc, s35, v2
	v_addc_co_u32_e32 v3, vcc, v15, v3, vcc
	global_store_dword v[2:3], v25, off
	s_or_b64 exec, exec, s[16:17]
	s_and_saveexec_b64 s[8:9], s[10:11]
	s_cbranch_execz .LBB1_51
.LBB1_54:                               ;   in Loop: Header=BB1_10 Depth=1
	v_lshlrev_b64 v[2:3], 2, v[4:5]
	v_mov_b32_e32 v4, s38
	v_add_co_u32_e32 v2, vcc, s35, v2
	v_addc_co_u32_e32 v3, vcc, v4, v3, vcc
	global_store_dword v[2:3], v18, off
	s_or_b64 exec, exec, s[8:9]
	s_and_saveexec_b64 s[8:9], s[12:13]
	s_cbranch_execz .LBB1_52
.LBB1_55:                               ;   in Loop: Header=BB1_10 Depth=1
	v_lshlrev_b64 v[2:3], 2, v[6:7]
	v_mov_b32_e32 v4, s38
	v_add_co_u32_e32 v2, vcc, s35, v2
	v_addc_co_u32_e32 v3, vcc, v4, v3, vcc
	global_store_dword v[2:3], v19, off
	s_or_b64 exec, exec, s[8:9]
	s_and_saveexec_b64 s[8:9], s[14:15]
	s_cbranch_execz .LBB1_9
.LBB1_56:                               ;   in Loop: Header=BB1_10 Depth=1
	v_lshlrev_b64 v[2:3], 2, v[8:9]
	v_mov_b32_e32 v4, s38
	v_add_co_u32_e32 v2, vcc, s35, v2
	v_addc_co_u32_e32 v3, vcc, v4, v3, vcc
	global_store_dword v[2:3], v21, off
	s_branch .LBB1_9
.LBB1_57:                               ;   in Loop: Header=BB1_10 Depth=1
	v_lshlrev_b64 v[26:27], 2, v[2:3]
	v_mov_b32_e32 v28, s37
	v_add_co_u32_e32 v26, vcc, s34, v26
	v_addc_co_u32_e32 v27, vcc, v28, v27, vcc
	global_store_dword v[26:27], v15, off
	s_or_b64 exec, exec, s[16:17]
	s_and_saveexec_b64 s[16:17], s[10:11]
	s_cbranch_execz .LBB1_45
.LBB1_58:                               ;   in Loop: Header=BB1_10 Depth=1
	v_lshlrev_b64 v[26:27], 2, v[4:5]
	v_mov_b32_e32 v15, s37
	v_add_co_u32_e32 v26, vcc, s34, v26
	v_addc_co_u32_e32 v27, vcc, v15, v27, vcc
	global_store_dword v[26:27], v16, off
	s_or_b64 exec, exec, s[16:17]
	s_and_saveexec_b64 s[16:17], s[12:13]
	s_cbranch_execz .LBB1_46
.LBB1_59:                               ;   in Loop: Header=BB1_10 Depth=1
	v_lshlrev_b64 v[26:27], 2, v[6:7]
	v_mov_b32_e32 v15, s37
	v_add_co_u32_e32 v26, vcc, s34, v26
	v_addc_co_u32_e32 v27, vcc, v15, v27, vcc
	global_store_dword v[26:27], v17, off
	s_or_b64 exec, exec, s[16:17]
	s_and_saveexec_b64 s[16:17], s[14:15]
	s_cbranch_execnz .LBB1_47
	s_branch .LBB1_48
.LBB1_60:
	s_mov_b64 s[6:7], 0
.LBB1_61:
	s_andn2_b64 vcc, exec, s[6:7]
	s_cbranch_vccnz .LBB1_75
; %bb.62:
	v_mov_b32_e32 v15, 0
	v_lshlrev_b32_e32 v14, 2, v0
	v_cmp_gt_i64_e32 vcc, s[22:23], v[14:15]
	s_and_saveexec_b64 s[6:7], vcc
	s_cbranch_execz .LBB1_75
; %bb.63:
	s_load_dword s8, s[4:5], 0xc9c
	s_cmp_lg_u64 s[20:21], 0
	s_cselect_b64 s[6:7], -1, 0
	v_cndmask_b32_e64 v2, 0, 1, s[6:7]
	v_mov_b32_e32 v1, v15
	s_mov_b64 s[10:11], 0
	v_cmp_neq_f32_e64 s[4:5], 0, v23
	v_sub_f32_e32 v25, 1.0, v10
	s_waitcnt lgkmcnt(0)
	s_and_b32 s12, s8, 0xffff
	v_mov_b32_e32 v26, s36
	v_mov_b32_e32 v27, s37
	;; [unrolled: 1-line block ×3, first 2 shown]
	v_cmp_ne_u32_e64 s[6:7], 1, v2
	s_movk_i32 s13, 0x3fff
	s_branch .LBB1_65
.LBB1_64:                               ;   in Loop: Header=BB1_65 Depth=1
	v_add_u32_e32 v14, s12, v0
	v_lshlrev_b64 v[0:1], 2, v[14:15]
	v_cmp_le_u64_e32 vcc, s[22:23], v[0:1]
	v_cmp_lt_u32_e64 s[8:9], s13, v14
	s_or_b64 s[8:9], s[8:9], vcc
	s_and_b64 s[8:9], exec, s[8:9]
	s_or_b64 s[10:11], s[8:9], s[10:11]
	v_pk_mov_b32 v[0:1], v[14:15], v[14:15] op_sel:[0,1]
	global_store_dwordx4 v[18:19], v[10:13], off
	s_andn2_b64 exec, exec, s[10:11]
	s_cbranch_execz .LBB1_75
.LBB1_65:                               ; =>This Inner Loop Header: Depth=1
	v_lshlrev_b64 v[10:11], 4, v[0:1]
	v_add_co_u32_e32 v20, vcc, s33, v10
	v_addc_co_u32_e32 v21, vcc, v26, v11, vcc
	v_add_co_u32_e32 v16, vcc, s34, v10
	v_addc_co_u32_e32 v17, vcc, v27, v11, vcc
	v_add_co_u32_e32 v18, vcc, s35, v10
	v_addc_co_u32_e32 v19, vcc, v28, v11, vcc
	global_load_dwordx4 v[6:9], v[20:21], off
	global_load_dwordx4 v[2:5], v[16:17], off
	;; [unrolled: 1-line block ×3, first 2 shown]
	s_and_b64 vcc, exec, s[6:7]
	s_cbranch_vccnz .LBB1_67
; %bb.66:                               ;   in Loop: Header=BB1_65 Depth=1
	global_load_dword v1, v15, s[20:21]
	s_waitcnt vmcnt(0)
	v_div_scale_f32 v14, s[8:9], v1, v1, v2
	v_rcp_f32_e32 v29, v14
	v_div_scale_f32 v30, vcc, v2, v1, v2
	v_fma_f32 v31, -v14, v29, 1.0
	v_fmac_f32_e32 v29, v31, v29
	v_mul_f32_e32 v31, v30, v29
	v_fma_f32 v32, -v14, v31, v30
	v_fmac_f32_e32 v31, v32, v29
	v_fma_f32 v14, -v14, v31, v30
	v_div_fmas_f32 v14, v14, v29, v31
	v_div_fixup_f32 v2, v14, v1, v2
.LBB1_67:                               ;   in Loop: Header=BB1_65 Depth=1
	s_and_b64 vcc, exec, s[6:7]
	s_cbranch_vccnz .LBB1_69
; %bb.68:                               ;   in Loop: Header=BB1_65 Depth=1
	global_load_dword v1, v15, s[20:21]
	s_waitcnt vmcnt(0)
	v_div_scale_f32 v14, s[8:9], v1, v1, v3
	v_rcp_f32_e32 v29, v14
	v_div_scale_f32 v30, vcc, v3, v1, v3
	v_fma_f32 v31, -v14, v29, 1.0
	v_fmac_f32_e32 v29, v31, v29
	v_mul_f32_e32 v31, v30, v29
	v_fma_f32 v32, -v14, v31, v30
	v_fmac_f32_e32 v31, v32, v29
	v_fma_f32 v14, -v14, v31, v30
	v_div_fmas_f32 v14, v14, v29, v31
	v_div_fixup_f32 v3, v14, v1, v3
.LBB1_69:                               ;   in Loop: Header=BB1_65 Depth=1
	;; [unrolled: 17-line block ×4, first 2 shown]
	s_waitcnt vmcnt(1)
	v_cndmask_b32_e64 v1, v4, -v4, s[18:19]
	v_fma_f32 v14, v8, v23, v1
	v_cndmask_b32_e64 v1, v1, v14, s[4:5]
	v_mul_f32_e32 v14, v25, v1
	s_waitcnt vmcnt(0)
	v_fmac_f32_e32 v14, v12, v24
	v_cndmask_b32_e64 v12, v14, v1, s[2:3]
	v_fmac_f32_e32 v1, v12, v24
	v_cndmask_b32_e64 v1, v12, v1, s[0:1]
	v_fma_f32 v8, -v22, v1, v8
	v_cndmask_b32_e64 v1, v3, -v3, s[18:19]
	v_fma_f32 v14, v7, v23, v1
	v_cndmask_b32_e64 v1, v1, v14, s[4:5]
	v_mul_f32_e32 v14, v25, v1
	v_fmac_f32_e32 v14, v11, v24
	v_cndmask_b32_e64 v11, v14, v1, s[2:3]
	v_fmac_f32_e32 v1, v11, v24
	v_cndmask_b32_e64 v1, v11, v1, s[0:1]
	v_fma_f32 v7, -v22, v1, v7
	v_cndmask_b32_e64 v1, v2, -v2, s[18:19]
	v_fma_f32 v14, v6, v23, v1
	v_cndmask_b32_e64 v1, v1, v14, s[4:5]
	v_mul_f32_e32 v14, v25, v1
	;; [unrolled: 9-line block ×3, first 2 shown]
	v_fmac_f32_e32 v14, v13, v24
	v_cndmask_b32_e64 v13, v14, v1, s[2:3]
	v_fmac_f32_e32 v1, v13, v24
	v_cndmask_b32_e64 v1, v13, v1, s[0:1]
	v_fma_f32 v9, -v22, v1, v9
	s_and_b64 vcc, exec, s[6:7]
	global_store_dwordx4 v[20:21], v[6:9], off
	s_cbranch_vccnz .LBB1_64
; %bb.74:                               ;   in Loop: Header=BB1_65 Depth=1
	global_store_dwordx4 v[16:17], v[2:5], off
	s_branch .LBB1_64
.LBB1_75:
	s_endpgm
.LBB1_76:
                                        ; implicit-def: $sgpr12
	s_load_dword s6, s[0:1], 0x740
	v_mov_b32_e32 v22, s12
	s_branch .LBB1_5
	.section	.rodata,"a",@progbits
	.p2align	6, 0x0
	.amdhsa_kernel _ZN2at6native12_GLOBAL__N_125multi_tensor_apply_kernelINS1_18TensorListMetadataILi3EEENS1_19FusedSgdMathFunctorIfLi3EEEJddPfddbbbS7_S7_EEEvT_T0_DpT1_
		.amdhsa_group_segment_fixed_size 0
		.amdhsa_private_segment_fixed_size 0
		.amdhsa_kernarg_size 3472
		.amdhsa_user_sgpr_count 6
		.amdhsa_user_sgpr_private_segment_buffer 1
		.amdhsa_user_sgpr_dispatch_ptr 0
		.amdhsa_user_sgpr_queue_ptr 0
		.amdhsa_user_sgpr_kernarg_segment_ptr 1
		.amdhsa_user_sgpr_dispatch_id 0
		.amdhsa_user_sgpr_flat_scratch_init 0
		.amdhsa_user_sgpr_kernarg_preload_length 0
		.amdhsa_user_sgpr_kernarg_preload_offset 0
		.amdhsa_user_sgpr_private_segment_size 0
		.amdhsa_uses_dynamic_stack 0
		.amdhsa_system_sgpr_private_segment_wavefront_offset 0
		.amdhsa_system_sgpr_workgroup_id_x 1
		.amdhsa_system_sgpr_workgroup_id_y 0
		.amdhsa_system_sgpr_workgroup_id_z 0
		.amdhsa_system_sgpr_workgroup_info 0
		.amdhsa_system_vgpr_workitem_id 0
		.amdhsa_next_free_vgpr 36
		.amdhsa_next_free_sgpr 43
		.amdhsa_accum_offset 36
		.amdhsa_reserve_vcc 1
		.amdhsa_reserve_flat_scratch 0
		.amdhsa_float_round_mode_32 0
		.amdhsa_float_round_mode_16_64 0
		.amdhsa_float_denorm_mode_32 3
		.amdhsa_float_denorm_mode_16_64 3
		.amdhsa_dx10_clamp 1
		.amdhsa_ieee_mode 1
		.amdhsa_fp16_overflow 0
		.amdhsa_tg_split 0
		.amdhsa_exception_fp_ieee_invalid_op 0
		.amdhsa_exception_fp_denorm_src 0
		.amdhsa_exception_fp_ieee_div_zero 0
		.amdhsa_exception_fp_ieee_overflow 0
		.amdhsa_exception_fp_ieee_underflow 0
		.amdhsa_exception_fp_ieee_inexact 0
		.amdhsa_exception_int_div_zero 0
	.end_amdhsa_kernel
	.section	.text._ZN2at6native12_GLOBAL__N_125multi_tensor_apply_kernelINS1_18TensorListMetadataILi3EEENS1_19FusedSgdMathFunctorIfLi3EEEJddPfddbbbS7_S7_EEEvT_T0_DpT1_,"axG",@progbits,_ZN2at6native12_GLOBAL__N_125multi_tensor_apply_kernelINS1_18TensorListMetadataILi3EEENS1_19FusedSgdMathFunctorIfLi3EEEJddPfddbbbS7_S7_EEEvT_T0_DpT1_,comdat
.Lfunc_end1:
	.size	_ZN2at6native12_GLOBAL__N_125multi_tensor_apply_kernelINS1_18TensorListMetadataILi3EEENS1_19FusedSgdMathFunctorIfLi3EEEJddPfddbbbS7_S7_EEEvT_T0_DpT1_, .Lfunc_end1-_ZN2at6native12_GLOBAL__N_125multi_tensor_apply_kernelINS1_18TensorListMetadataILi3EEENS1_19FusedSgdMathFunctorIfLi3EEEJddPfddbbbS7_S7_EEEvT_T0_DpT1_
                                        ; -- End function
	.section	.AMDGPU.csdata,"",@progbits
; Kernel info:
; codeLenInByte = 3120
; NumSgprs: 47
; NumVgprs: 36
; NumAgprs: 0
; TotalNumVgprs: 36
; ScratchSize: 0
; MemoryBound: 0
; FloatMode: 240
; IeeeMode: 1
; LDSByteSize: 0 bytes/workgroup (compile time only)
; SGPRBlocks: 5
; VGPRBlocks: 4
; NumSGPRsForWavesPerEU: 47
; NumVGPRsForWavesPerEU: 36
; AccumOffset: 36
; Occupancy: 8
; WaveLimiterHint : 0
; COMPUTE_PGM_RSRC2:SCRATCH_EN: 0
; COMPUTE_PGM_RSRC2:USER_SGPR: 6
; COMPUTE_PGM_RSRC2:TRAP_HANDLER: 0
; COMPUTE_PGM_RSRC2:TGID_X_EN: 1
; COMPUTE_PGM_RSRC2:TGID_Y_EN: 0
; COMPUTE_PGM_RSRC2:TGID_Z_EN: 0
; COMPUTE_PGM_RSRC2:TIDIG_COMP_CNT: 0
; COMPUTE_PGM_RSRC3_GFX90A:ACCUM_OFFSET: 8
; COMPUTE_PGM_RSRC3_GFX90A:TG_SPLIT: 0
	.section	.text._ZN2at6native12_GLOBAL__N_125multi_tensor_apply_kernelINS1_18TensorListMetadataILi3EEENS1_19FusedSgdMathFunctorIN3c104HalfELi3EEEJddPfddbbbS9_S9_EEEvT_T0_DpT1_,"axG",@progbits,_ZN2at6native12_GLOBAL__N_125multi_tensor_apply_kernelINS1_18TensorListMetadataILi3EEENS1_19FusedSgdMathFunctorIN3c104HalfELi3EEEJddPfddbbbS9_S9_EEEvT_T0_DpT1_,comdat
	.globl	_ZN2at6native12_GLOBAL__N_125multi_tensor_apply_kernelINS1_18TensorListMetadataILi3EEENS1_19FusedSgdMathFunctorIN3c104HalfELi3EEEJddPfddbbbS9_S9_EEEvT_T0_DpT1_ ; -- Begin function _ZN2at6native12_GLOBAL__N_125multi_tensor_apply_kernelINS1_18TensorListMetadataILi3EEENS1_19FusedSgdMathFunctorIN3c104HalfELi3EEEJddPfddbbbS9_S9_EEEvT_T0_DpT1_
	.p2align	8
	.type	_ZN2at6native12_GLOBAL__N_125multi_tensor_apply_kernelINS1_18TensorListMetadataILi3EEENS1_19FusedSgdMathFunctorIN3c104HalfELi3EEEJddPfddbbbS9_S9_EEEvT_T0_DpT1_,@function
_ZN2at6native12_GLOBAL__N_125multi_tensor_apply_kernelINS1_18TensorListMetadataILi3EEENS1_19FusedSgdMathFunctorIN3c104HalfELi3EEEJddPfddbbbS9_S9_EEEvT_T0_DpT1_: ; @_ZN2at6native12_GLOBAL__N_125multi_tensor_apply_kernelINS1_18TensorListMetadataILi3EEENS1_19FusedSgdMathFunctorIN3c104HalfELi3EEEJddPfddbbbS9_S9_EEEvT_T0_DpT1_
; %bb.0:
	s_load_dwordx4 s[20:23], s[4:5], 0xc80
	s_waitcnt lgkmcnt(0)
	s_cmp_eq_u64 s[22:23], 0
	s_cselect_b64 s[0:1], -1, 0
	s_and_b64 vcc, exec, s[0:1]
	s_cbranch_vccnz .LBB2_2
; %bb.1:
	s_load_dword s0, s[22:23], 0x0
	s_waitcnt lgkmcnt(0)
	v_cmp_neq_f32_e64 s[0:1], s0, 1.0
.LBB2_2:
	s_andn2_b64 vcc, exec, s[0:1]
	s_cbranch_vccnz .LBB2_75
; %bb.3:
	v_mov_b32_e32 v1, s6
	global_load_ubyte v1, v1, s[4:5] offset:1536
	s_load_dwordx2 s[16:17], s[4:5], 0xc70
	s_load_dwordx8 s[8:15], s[4:5], 0xc50
	s_add_u32 s0, s4, s6
	s_mul_hi_u32 s1, s6, 3
	s_mul_i32 s6, s6, 3
	s_addc_u32 s2, s5, 0
	s_add_u32 s0, s0, s6
	s_addc_u32 s1, s2, s1
	s_waitcnt lgkmcnt(0)
	s_cmp_eq_u64 s[12:13], 0
	s_mov_b64 s[2:3], 0
	s_waitcnt vmcnt(0)
	v_readfirstlane_b32 s7, v1
	s_cbranch_scc1 .LBB2_76
; %bb.4:
	s_load_dword s12, s[12:13], 0x0
	s_nop 0
	s_load_dword s6, s[0:1], 0x740
	s_andn2_b64 vcc, exec, s[2:3]
	s_waitcnt lgkmcnt(0)
	v_mov_b32_e32 v16, s12
	s_cbranch_vccnz .LBB2_6
.LBB2_5:
	v_cvt_f32_f64_e32 v16, s[14:15]
.LBB2_6:
	s_load_dword s2, s[4:5], 0xc78
	v_cvt_f32_f64_e32 v17, s[8:9]
	v_cvt_f32_f64_e32 v18, s[10:11]
	;; [unrolled: 1-line block ×3, first 2 shown]
	s_waitcnt lgkmcnt(0)
	s_bitcmp1_b32 s2, 0
	s_cselect_b64 s[0:1], -1, 0
	s_bitcmp1_b32 s2, 8
	s_cselect_b64 s[18:19], -1, 0
	;; [unrolled: 2-line block ×3, first 2 shown]
	s_and_b32 s7, s7, 0xff
	s_lshl_b32 s22, s7, 3
	s_load_dwordx2 s[8:9], s[4:5], s22 offset:0x480
	s_ashr_i32 s7, s6, 31
	s_lshl_b64 s[10:11], s[6:7], 16
	s_load_dwordx2 s[12:13], s[4:5], s22 offset:0x0
	s_load_dwordx2 s[14:15], s[4:5], s22 offset:0x180
	;; [unrolled: 1-line block ×3, first 2 shown]
	s_waitcnt lgkmcnt(0)
	s_sub_u32 s22, s8, s10
	s_subb_u32 s23, s9, s11
	s_lshl_b64 s[6:7], s[6:7], 17
	s_add_u32 s33, s12, s6
	s_addc_u32 s36, s13, s7
	s_and_b32 s9, s33, 7
	s_add_u32 s34, s14, s6
	s_addc_u32 s37, s15, s7
	s_and_b32 s10, s34, 7
	;; [unrolled: 3-line block ×3, first 2 shown]
	s_and_b32 s7, s8, 3
	s_or_b32 s6, s7, s6
	s_or_b32 s6, s6, s10
	;; [unrolled: 1-line block ×3, first 2 shown]
	s_mov_b32 s7, 0
	s_cmp_eq_u64 s[6:7], 0
	s_mov_b64 s[6:7], -1
	s_cbranch_scc1 .LBB2_61
; %bb.7:
	v_cmp_lt_i64_e64 s[6:7], s[22:23], 1
	s_and_b64 vcc, exec, s[6:7]
	s_cbranch_vccnz .LBB2_60
; %bb.8:
	s_load_dword s8, s[4:5], 0xc9c
	v_mov_b32_e32 v2, 0x10000
	v_mov_b32_e32 v3, 0
	v_cmp_lt_i64_e32 vcc, s[22:23], v[2:3]
	s_and_b64 s[6:7], vcc, exec
	s_cselect_b32 s25, s23, 0
	s_cselect_b32 s24, s22, 0x10000
	s_waitcnt lgkmcnt(0)
	s_and_b32 s39, s8, 0xffff
	s_lshl_b32 s40, s39, 1
	s_mov_b32 s9, 0
	s_cmp_lg_u64 s[20:21], 0
	s_mul_i32 s41, s39, 3
	s_mov_b64 s[26:27], 0
	s_cselect_b64 s[28:29], -1, 0
	v_cmp_neq_f32_e64 s[6:7], 0, v17
	v_sub_f32_e32 v1, 1.0, v10
	s_lshl_b32 s42, s39, 2
	v_mov_b32_e32 v11, s9
	v_mov_b32_e32 v12, s9
	;; [unrolled: 1-line block ×3, first 2 shown]
	s_branch .LBB2_10
.LBB2_9:                                ;   in Loop: Header=BB2_10 Depth=1
	s_or_b64 exec, exec, s[8:9]
	s_add_i32 s26, s26, s42
	s_ashr_i32 s27, s26, 31
	v_pk_mov_b32 v[2:3], s[24:25], s[24:25] op_sel:[0,1]
	v_cmp_lt_i64_e32 vcc, s[26:27], v[2:3]
	s_cbranch_vccz .LBB2_60
.LBB2_10:                               ; =>This Inner Loop Header: Depth=1
	v_mov_b32_e32 v3, s27
	v_add_co_u32_e32 v2, vcc, s26, v0
	v_addc_co_u32_e32 v3, vcc, 0, v3, vcc
	v_cmp_gt_i64_e64 s[8:9], s[24:25], v[2:3]
	v_mov_b32_e32 v20, 0
	v_mov_b32_e32 v14, 0
	s_and_saveexec_b64 s[10:11], s[8:9]
	s_cbranch_execz .LBB2_12
; %bb.11:                               ;   in Loop: Header=BB2_10 Depth=1
	v_lshlrev_b64 v[4:5], 1, v[2:3]
	v_mov_b32_e32 v7, s37
	v_add_co_u32_e32 v6, vcc, s34, v4
	v_addc_co_u32_e32 v7, vcc, v7, v5, vcc
	v_mov_b32_e32 v8, s36
	v_add_co_u32_e32 v4, vcc, s33, v4
	v_addc_co_u32_e32 v5, vcc, v8, v5, vcc
	global_load_ushort v20, v[4:5], off
	global_load_ushort v14, v[6:7], off
.LBB2_12:                               ;   in Loop: Header=BB2_10 Depth=1
	s_or_b64 exec, exec, s[10:11]
	v_mov_b32_e32 v21, 0
	v_mov_b32_e32 v24, 0
	s_and_saveexec_b64 s[10:11], s[8:9]
	s_cbranch_execz .LBB2_14
; %bb.13:                               ;   in Loop: Header=BB2_10 Depth=1
	v_lshlrev_b64 v[4:5], 1, v[2:3]
	v_mov_b32_e32 v6, s38
	v_add_co_u32_e32 v4, vcc, s35, v4
	v_addc_co_u32_e32 v5, vcc, v6, v5, vcc
	global_load_ushort v24, v[4:5], off
.LBB2_14:                               ;   in Loop: Header=BB2_10 Depth=1
	s_or_b64 exec, exec, s[10:11]
	v_add_co_u32_e32 v4, vcc, s39, v2
	v_addc_co_u32_e32 v5, vcc, v3, v11, vcc
	v_cmp_gt_i64_e64 s[10:11], s[24:25], v[4:5]
	v_mov_b32_e32 v15, 0
	s_and_saveexec_b64 s[12:13], s[10:11]
	s_cbranch_execz .LBB2_16
; %bb.15:                               ;   in Loop: Header=BB2_10 Depth=1
	v_lshlrev_b64 v[6:7], 1, v[4:5]
	v_mov_b32_e32 v9, s37
	v_add_co_u32_e32 v8, vcc, s34, v6
	v_addc_co_u32_e32 v9, vcc, v9, v7, vcc
	v_mov_b32_e32 v15, s36
	v_add_co_u32_e32 v6, vcc, s33, v6
	v_addc_co_u32_e32 v7, vcc, v15, v7, vcc
	global_load_ushort v21, v[6:7], off
	global_load_ushort v15, v[8:9], off
.LBB2_16:                               ;   in Loop: Header=BB2_10 Depth=1
	s_or_b64 exec, exec, s[12:13]
	v_mov_b32_e32 v23, 0
	v_mov_b32_e32 v26, 0
	s_and_saveexec_b64 s[12:13], s[10:11]
	s_cbranch_execz .LBB2_18
; %bb.17:                               ;   in Loop: Header=BB2_10 Depth=1
	v_lshlrev_b64 v[6:7], 1, v[4:5]
	v_mov_b32_e32 v8, s38
	v_add_co_u32_e32 v6, vcc, s35, v6
	v_addc_co_u32_e32 v7, vcc, v8, v7, vcc
	global_load_ushort v26, v[6:7], off
.LBB2_18:                               ;   in Loop: Header=BB2_10 Depth=1
	s_or_b64 exec, exec, s[12:13]
	v_add_co_u32_e32 v6, vcc, s40, v2
	v_addc_co_u32_e32 v7, vcc, v3, v12, vcc
	v_cmp_gt_i64_e64 s[12:13], s[24:25], v[6:7]
	;; [unrolled: 30-line block ×3, first 2 shown]
	v_mov_b32_e32 v22, 0
	s_and_saveexec_b64 s[16:17], s[14:15]
	s_cbranch_execz .LBB2_24
; %bb.23:                               ;   in Loop: Header=BB2_10 Depth=1
	v_lshlrev_b64 v[28:29], 1, v[8:9]
	v_mov_b32_e32 v22, s37
	v_add_co_u32_e32 v30, vcc, s34, v28
	v_addc_co_u32_e32 v31, vcc, v22, v29, vcc
	v_mov_b32_e32 v22, s36
	v_add_co_u32_e32 v28, vcc, s33, v28
	v_addc_co_u32_e32 v29, vcc, v22, v29, vcc
	global_load_ushort v25, v[28:29], off
	global_load_ushort v22, v[30:31], off
.LBB2_24:                               ;   in Loop: Header=BB2_10 Depth=1
	s_or_b64 exec, exec, s[16:17]
	v_mov_b32_e32 v28, 0
	s_and_saveexec_b64 s[16:17], s[14:15]
	s_cbranch_execz .LBB2_26
; %bb.25:                               ;   in Loop: Header=BB2_10 Depth=1
	v_lshlrev_b64 v[28:29], 1, v[8:9]
	v_mov_b32_e32 v30, s38
	v_add_co_u32_e32 v28, vcc, s35, v28
	v_addc_co_u32_e32 v29, vcc, v30, v29, vcc
	global_load_ushort v28, v[28:29], off
.LBB2_26:                               ;   in Loop: Header=BB2_10 Depth=1
	s_or_b64 exec, exec, s[16:17]
	s_waitcnt vmcnt(0)
	v_cvt_f32_f16_e32 v29, v14
	v_cndmask_b32_e64 v30, 0, 1, s[28:29]
	v_cmp_ne_u32_e64 s[16:17], 1, v30
	s_andn2_b64 vcc, exec, s[28:29]
	s_cbranch_vccnz .LBB2_28
; %bb.27:                               ;   in Loop: Header=BB2_10 Depth=1
	s_load_dword s27, s[20:21], 0x0
	s_waitcnt lgkmcnt(0)
	v_div_scale_f32 v14, s[30:31], s27, s27, v29
	v_rcp_f32_e32 v30, v14
	v_div_scale_f32 v31, vcc, v29, s27, v29
	v_fma_f32 v32, -v14, v30, 1.0
	v_fmac_f32_e32 v30, v32, v30
	v_mul_f32_e32 v32, v31, v30
	v_fma_f32 v33, -v14, v32, v31
	v_fmac_f32_e32 v32, v33, v30
	v_fma_f32 v14, -v14, v32, v31
	v_div_fmas_f32 v14, v14, v30, v32
	v_div_fixup_f32 v29, v14, s27, v29
	v_cvt_f16_f32_e32 v14, v29
.LBB2_28:                               ;   in Loop: Header=BB2_10 Depth=1
	v_cvt_f32_f16_e32 v30, v15
	s_and_b64 vcc, exec, s[16:17]
	s_cbranch_vccnz .LBB2_30
; %bb.29:                               ;   in Loop: Header=BB2_10 Depth=1
	s_load_dword s27, s[20:21], 0x0
	s_waitcnt lgkmcnt(0)
	v_div_scale_f32 v15, s[30:31], s27, s27, v30
	v_rcp_f32_e32 v31, v15
	v_div_scale_f32 v32, vcc, v30, s27, v30
	v_fma_f32 v33, -v15, v31, 1.0
	v_fmac_f32_e32 v31, v33, v31
	v_mul_f32_e32 v33, v32, v31
	v_fma_f32 v34, -v15, v33, v32
	v_fmac_f32_e32 v33, v34, v31
	v_fma_f32 v15, -v15, v33, v32
	v_div_fmas_f32 v15, v15, v31, v33
	v_div_fixup_f32 v30, v15, s27, v30
	v_cvt_f16_f32_e32 v15, v30
.LBB2_30:                               ;   in Loop: Header=BB2_10 Depth=1
	v_cvt_f32_f16_e32 v31, v19
	s_and_b64 vcc, exec, s[16:17]
	;; [unrolled: 19-line block ×3, first 2 shown]
	s_cbranch_vccnz .LBB2_34
; %bb.33:                               ;   in Loop: Header=BB2_10 Depth=1
	s_load_dword s27, s[20:21], 0x0
	s_waitcnt lgkmcnt(0)
	v_div_scale_f32 v22, s[30:31], s27, s27, v32
	v_rcp_f32_e32 v33, v22
	v_div_scale_f32 v34, vcc, v32, s27, v32
	v_fma_f32 v35, -v22, v33, 1.0
	v_fmac_f32_e32 v33, v35, v33
	v_mul_f32_e32 v35, v34, v33
	v_fma_f32 v36, -v22, v35, v34
	v_fmac_f32_e32 v35, v36, v33
	v_fma_f32 v22, -v22, v35, v34
	v_div_fmas_f32 v22, v22, v33, v35
	v_div_fixup_f32 v32, v22, s27, v32
	v_cvt_f16_f32_e32 v22, v32
.LBB2_34:                               ;   in Loop: Header=BB2_10 Depth=1
	v_cndmask_b32_e64 v29, v29, -v29, s[18:19]
	v_fma_mix_f32 v33, v17, v20, v29 op_sel_hi:[0,1,0]
	v_cndmask_b32_e64 v29, v29, v33, s[6:7]
	v_mul_f32_e32 v33, v1, v29
	v_fma_mix_f32 v24, v18, v24, v33 op_sel_hi:[0,1,0]
	v_cndmask_b32_e64 v24, v24, v29, s[2:3]
	s_and_saveexec_b64 s[30:31], s[8:9]
	s_cbranch_execz .LBB2_36
; %bb.35:                               ;   in Loop: Header=BB2_10 Depth=1
	v_cvt_f32_f16_e32 v20, v20
	v_fmac_f32_e32 v29, v24, v18
	v_lshlrev_b64 v[34:35], 1, v[2:3]
	v_cndmask_b32_e64 v29, v24, v29, s[0:1]
	v_fma_mixlo_f16 v20, -v16, v29, v20
	v_mov_b32_e32 v29, s36
	v_add_co_u32_e32 v34, vcc, s33, v34
	v_addc_co_u32_e32 v35, vcc, v29, v35, vcc
	global_store_short v[34:35], v20, off
.LBB2_36:                               ;   in Loop: Header=BB2_10 Depth=1
	s_or_b64 exec, exec, s[30:31]
	v_cndmask_b32_e64 v20, v30, -v30, s[18:19]
	v_fma_mix_f32 v29, v17, v21, v20 op_sel_hi:[0,1,0]
	v_cndmask_b32_e64 v29, v20, v29, s[6:7]
	v_mul_f32_e32 v20, v1, v29
	v_fma_mix_f32 v20, v18, v26, v20 op_sel_hi:[0,1,0]
	v_cndmask_b32_e64 v20, v20, v29, s[2:3]
	s_and_saveexec_b64 s[30:31], s[10:11]
	s_cbranch_execz .LBB2_38
; %bb.37:                               ;   in Loop: Header=BB2_10 Depth=1
	v_cvt_f32_f16_e32 v21, v21
	v_fmac_f32_e32 v29, v20, v18
	v_lshlrev_b64 v[34:35], 1, v[4:5]
	v_cndmask_b32_e64 v26, v20, v29, s[0:1]
	v_fma_mixlo_f16 v21, -v16, v26, v21
	v_mov_b32_e32 v26, s36
	v_add_co_u32_e32 v34, vcc, s33, v34
	v_addc_co_u32_e32 v35, vcc, v26, v35, vcc
	global_store_short v[34:35], v21, off
.LBB2_38:                               ;   in Loop: Header=BB2_10 Depth=1
	s_or_b64 exec, exec, s[30:31]
	;; [unrolled: 20-line block ×4, first 2 shown]
	s_and_b64 vcc, exec, s[16:17]
	s_cbranch_vccnz .LBB2_49
; %bb.43:                               ;   in Loop: Header=BB2_10 Depth=1
	s_and_saveexec_b64 s[16:17], s[8:9]
	s_cbranch_execnz .LBB2_57
; %bb.44:                               ;   in Loop: Header=BB2_10 Depth=1
	s_or_b64 exec, exec, s[16:17]
	s_and_saveexec_b64 s[16:17], s[10:11]
	s_cbranch_execnz .LBB2_58
.LBB2_45:                               ;   in Loop: Header=BB2_10 Depth=1
	s_or_b64 exec, exec, s[16:17]
	s_and_saveexec_b64 s[16:17], s[12:13]
	s_cbranch_execnz .LBB2_59
.LBB2_46:                               ;   in Loop: Header=BB2_10 Depth=1
	s_or_b64 exec, exec, s[16:17]
	s_and_saveexec_b64 s[16:17], s[14:15]
	s_cbranch_execz .LBB2_48
.LBB2_47:                               ;   in Loop: Header=BB2_10 Depth=1
	v_lshlrev_b64 v[14:15], 1, v[8:9]
	v_mov_b32_e32 v19, s37
	v_add_co_u32_e32 v14, vcc, s34, v14
	v_addc_co_u32_e32 v15, vcc, v19, v15, vcc
	global_store_short v[14:15], v22, off
.LBB2_48:                               ;   in Loop: Header=BB2_10 Depth=1
	s_or_b64 exec, exec, s[16:17]
.LBB2_49:                               ;   in Loop: Header=BB2_10 Depth=1
	s_and_saveexec_b64 s[16:17], s[8:9]
	s_cbranch_execnz .LBB2_53
; %bb.50:                               ;   in Loop: Header=BB2_10 Depth=1
	s_or_b64 exec, exec, s[16:17]
	s_and_saveexec_b64 s[8:9], s[10:11]
	s_cbranch_execnz .LBB2_54
.LBB2_51:                               ;   in Loop: Header=BB2_10 Depth=1
	s_or_b64 exec, exec, s[8:9]
	s_and_saveexec_b64 s[8:9], s[12:13]
	s_cbranch_execnz .LBB2_55
.LBB2_52:                               ;   in Loop: Header=BB2_10 Depth=1
	s_or_b64 exec, exec, s[8:9]
	s_and_saveexec_b64 s[8:9], s[14:15]
	s_cbranch_execz .LBB2_9
	s_branch .LBB2_56
.LBB2_53:                               ;   in Loop: Header=BB2_10 Depth=1
	v_cvt_f16_f32_e32 v14, v24
	v_lshlrev_b64 v[2:3], 1, v[2:3]
	v_mov_b32_e32 v15, s38
	v_add_co_u32_e32 v2, vcc, s35, v2
	v_addc_co_u32_e32 v3, vcc, v15, v3, vcc
	global_store_short v[2:3], v14, off
	s_or_b64 exec, exec, s[16:17]
	s_and_saveexec_b64 s[8:9], s[10:11]
	s_cbranch_execz .LBB2_51
.LBB2_54:                               ;   in Loop: Header=BB2_10 Depth=1
	v_cvt_f16_f32_e32 v14, v20
	v_lshlrev_b64 v[2:3], 1, v[4:5]
	v_mov_b32_e32 v4, s38
	v_add_co_u32_e32 v2, vcc, s35, v2
	v_addc_co_u32_e32 v3, vcc, v4, v3, vcc
	global_store_short v[2:3], v14, off
	s_or_b64 exec, exec, s[8:9]
	s_and_saveexec_b64 s[8:9], s[12:13]
	s_cbranch_execz .LBB2_52
.LBB2_55:                               ;   in Loop: Header=BB2_10 Depth=1
	v_cvt_f16_f32_e32 v4, v21
	v_lshlrev_b64 v[2:3], 1, v[6:7]
	v_mov_b32_e32 v5, s38
	v_add_co_u32_e32 v2, vcc, s35, v2
	v_addc_co_u32_e32 v3, vcc, v5, v3, vcc
	global_store_short v[2:3], v4, off
	s_or_b64 exec, exec, s[8:9]
	s_and_saveexec_b64 s[8:9], s[14:15]
	s_cbranch_execz .LBB2_9
.LBB2_56:                               ;   in Loop: Header=BB2_10 Depth=1
	v_cvt_f16_f32_e32 v4, v23
	v_lshlrev_b64 v[2:3], 1, v[8:9]
	v_mov_b32_e32 v5, s38
	v_add_co_u32_e32 v2, vcc, s35, v2
	v_addc_co_u32_e32 v3, vcc, v5, v3, vcc
	global_store_short v[2:3], v4, off
	s_branch .LBB2_9
.LBB2_57:                               ;   in Loop: Header=BB2_10 Depth=1
	v_lshlrev_b64 v[26:27], 1, v[2:3]
	v_mov_b32_e32 v25, s37
	v_add_co_u32_e32 v26, vcc, s34, v26
	v_addc_co_u32_e32 v27, vcc, v25, v27, vcc
	global_store_short v[26:27], v14, off
	s_or_b64 exec, exec, s[16:17]
	s_and_saveexec_b64 s[16:17], s[10:11]
	s_cbranch_execz .LBB2_45
.LBB2_58:                               ;   in Loop: Header=BB2_10 Depth=1
	v_lshlrev_b64 v[26:27], 1, v[4:5]
	v_mov_b32_e32 v14, s37
	v_add_co_u32_e32 v26, vcc, s34, v26
	v_addc_co_u32_e32 v27, vcc, v14, v27, vcc
	global_store_short v[26:27], v15, off
	s_or_b64 exec, exec, s[16:17]
	s_and_saveexec_b64 s[16:17], s[12:13]
	s_cbranch_execz .LBB2_46
.LBB2_59:                               ;   in Loop: Header=BB2_10 Depth=1
	v_lshlrev_b64 v[14:15], 1, v[6:7]
	v_mov_b32_e32 v25, s37
	v_add_co_u32_e32 v14, vcc, s34, v14
	v_addc_co_u32_e32 v15, vcc, v25, v15, vcc
	global_store_short v[14:15], v19, off
	s_or_b64 exec, exec, s[16:17]
	s_and_saveexec_b64 s[16:17], s[14:15]
	s_cbranch_execnz .LBB2_47
	s_branch .LBB2_48
.LBB2_60:
	s_mov_b64 s[6:7], 0
.LBB2_61:
	s_andn2_b64 vcc, exec, s[6:7]
	s_cbranch_vccnz .LBB2_75
; %bb.62:
	v_mov_b32_e32 v3, 0
	v_lshlrev_b32_e32 v2, 2, v0
	v_cmp_gt_i64_e32 vcc, s[22:23], v[2:3]
	s_and_saveexec_b64 s[6:7], vcc
	s_cbranch_execz .LBB2_75
; %bb.63:
	s_load_dword s8, s[4:5], 0xc9c
	s_cmp_lg_u64 s[20:21], 0
	s_cselect_b64 s[6:7], -1, 0
	v_cndmask_b32_e64 v2, 0, 1, s[6:7]
	v_mov_b32_e32 v1, v3
	s_mov_b64 s[10:11], 0
	v_cmp_neq_f32_e64 s[4:5], 0, v17
	v_sub_f32_e32 v19, 1.0, v10
	s_waitcnt lgkmcnt(0)
	s_and_b32 s12, s8, 0xffff
	v_mov_b32_e32 v20, s36
	v_mov_b32_e32 v21, s37
	;; [unrolled: 1-line block ×3, first 2 shown]
	v_cmp_ne_u32_e64 s[6:7], 1, v2
	s_mov_b32 s13, 0x5040100
	s_movk_i32 s14, 0x3fff
	s_branch .LBB2_65
.LBB2_64:                               ;   in Loop: Header=BB2_65 Depth=1
	v_cvt_f16_f32_e32 v1, v12
	v_cvt_f16_f32_e32 v6, v25
	;; [unrolled: 1-line block ×4, first 2 shown]
	v_pack_b32_f16 v7, v6, v1
	v_pack_b32_f16 v6, v2, v8
	v_add_u32_e32 v2, s12, v0
	v_lshlrev_b64 v[0:1], 2, v[2:3]
	v_cmp_le_u64_e32 vcc, s[22:23], v[0:1]
	v_cmp_lt_u32_e64 s[8:9], s14, v2
	s_or_b64 s[8:9], s[8:9], vcc
	s_and_b64 s[8:9], exec, s[8:9]
	s_or_b64 s[10:11], s[8:9], s[10:11]
	v_pk_mov_b32 v[0:1], v[2:3], v[2:3] op_sel:[0,1]
	global_store_dwordx2 v[4:5], v[6:7], off
	s_andn2_b64 exec, exec, s[10:11]
	s_cbranch_execz .LBB2_75
.LBB2_65:                               ; =>This Inner Loop Header: Depth=1
	v_lshlrev_b64 v[4:5], 3, v[0:1]
	v_add_co_u32_e32 v8, vcc, s33, v4
	v_addc_co_u32_e32 v9, vcc, v20, v5, vcc
	v_add_co_u32_e32 v6, vcc, s34, v4
	v_addc_co_u32_e32 v7, vcc, v21, v5, vcc
	global_load_dwordx2 v[14:15], v[6:7], off
	v_add_co_u32_e32 v4, vcc, s35, v4
	v_addc_co_u32_e32 v5, vcc, v22, v5, vcc
	global_load_dwordx2 v[10:11], v[8:9], off
	global_load_dwordx2 v[12:13], v[4:5], off
	s_and_b64 vcc, exec, s[6:7]
	s_waitcnt vmcnt(2)
	v_cvt_f32_f16_e32 v2, v14
	s_cbranch_vccnz .LBB2_73
; %bb.66:                               ;   in Loop: Header=BB2_65 Depth=1
	global_load_dword v1, v3, s[20:21]
	s_waitcnt vmcnt(0)
	v_div_scale_f32 v23, s[8:9], v1, v1, v2
	v_rcp_f32_e32 v24, v23
	v_div_scale_f32 v25, vcc, v2, v1, v2
	v_fma_f32 v26, -v23, v24, 1.0
	v_fmac_f32_e32 v24, v26, v24
	v_mul_f32_e32 v26, v25, v24
	v_fma_f32 v27, -v23, v26, v25
	v_fmac_f32_e32 v26, v27, v24
	v_fma_f32 v23, -v23, v26, v25
	v_div_fmas_f32 v23, v23, v24, v26
	v_div_fixup_f32 v2, v23, v1, v2
	v_cvt_f16_f32_e32 v1, v2
	v_lshrrev_b32_e32 v14, 16, v14
	v_cvt_f32_f16_e32 v23, v14
	s_and_b64 vcc, exec, s[6:7]
	s_cbranch_vccnz .LBB2_68
.LBB2_67:                               ;   in Loop: Header=BB2_65 Depth=1
	global_load_dword v14, v3, s[20:21]
	s_waitcnt vmcnt(0)
	v_div_scale_f32 v24, s[8:9], v14, v14, v23
	v_rcp_f32_e32 v25, v24
	v_div_scale_f32 v26, vcc, v23, v14, v23
	v_fma_f32 v27, -v24, v25, 1.0
	v_fmac_f32_e32 v25, v27, v25
	v_mul_f32_e32 v27, v26, v25
	v_fma_f32 v28, -v24, v27, v26
	v_fmac_f32_e32 v27, v28, v25
	v_fma_f32 v24, -v24, v27, v26
	v_div_fmas_f32 v24, v24, v25, v27
	v_div_fixup_f32 v23, v24, v14, v23
	v_cvt_f16_f32_e32 v14, v23
.LBB2_68:                               ;   in Loop: Header=BB2_65 Depth=1
	v_cvt_f32_f16_e32 v25, v15
	s_and_b64 vcc, exec, s[6:7]
	s_cbranch_vccnz .LBB2_74
; %bb.69:                               ;   in Loop: Header=BB2_65 Depth=1
	global_load_dword v24, v3, s[20:21]
	s_waitcnt vmcnt(0)
	v_div_scale_f32 v26, s[8:9], v24, v24, v25
	v_rcp_f32_e32 v27, v26
	v_div_scale_f32 v28, vcc, v25, v24, v25
	v_fma_f32 v29, -v26, v27, 1.0
	v_fmac_f32_e32 v27, v29, v27
	v_mul_f32_e32 v29, v28, v27
	v_fma_f32 v30, -v26, v29, v28
	v_fmac_f32_e32 v29, v30, v27
	v_fma_f32 v26, -v26, v29, v28
	v_div_fmas_f32 v26, v26, v27, v29
	v_div_fixup_f32 v25, v26, v24, v25
	v_cvt_f16_f32_e32 v24, v25
	v_lshrrev_b32_e32 v15, 16, v15
	v_cvt_f32_f16_e32 v26, v15
	s_and_b64 vcc, exec, s[6:7]
	s_cbranch_vccnz .LBB2_71
.LBB2_70:                               ;   in Loop: Header=BB2_65 Depth=1
	global_load_dword v15, v3, s[20:21]
	s_waitcnt vmcnt(0)
	v_div_scale_f32 v27, s[8:9], v15, v15, v26
	v_rcp_f32_e32 v28, v27
	v_div_scale_f32 v29, vcc, v26, v15, v26
	v_fma_f32 v30, -v27, v28, 1.0
	v_fmac_f32_e32 v28, v30, v28
	v_mul_f32_e32 v30, v29, v28
	v_fma_f32 v31, -v27, v30, v29
	v_fmac_f32_e32 v30, v31, v28
	v_fma_f32 v27, -v27, v30, v29
	v_div_fmas_f32 v27, v27, v28, v30
	v_div_fixup_f32 v26, v27, v15, v26
	v_cvt_f16_f32_e32 v15, v26
.LBB2_71:                               ;   in Loop: Header=BB2_65 Depth=1
	v_cndmask_b32_e64 v25, v25, -v25, s[18:19]
	s_waitcnt vmcnt(1)
	v_fma_mix_f32 v27, v17, v11, v25 op_sel_hi:[0,1,0]
	v_cndmask_b32_e64 v27, v25, v27, s[4:5]
	v_mul_f32_e32 v25, v19, v27
	s_waitcnt vmcnt(0)
	v_fma_mix_f32 v25, v18, v13, v25 op_sel_hi:[0,1,0]
	v_cndmask_b32_e64 v2, v2, -v2, s[18:19]
	v_cndmask_b32_e64 v25, v25, v27, s[2:3]
	v_fma_mix_f32 v28, v17, v10, v2 op_sel_hi:[0,1,0]
	v_fmac_f32_e32 v27, v25, v18
	v_cndmask_b32_e64 v28, v2, v28, s[4:5]
	v_cndmask_b32_e64 v27, v25, v27, s[0:1]
	v_cndmask_b32_e64 v23, v23, -v23, s[18:19]
	v_mul_f32_e32 v2, v19, v28
	v_fma_mixlo_f16 v29, -v16, v27, v11 op_sel_hi:[0,0,1]
	v_fma_mix_f32 v27, v17, v10, v23 op_sel:[0,1,0] op_sel_hi:[0,1,0]
	v_fma_mix_f32 v2, v18, v12, v2 op_sel_hi:[0,1,0]
	v_cndmask_b32_e64 v27, v23, v27, s[4:5]
	v_cndmask_b32_e64 v2, v2, v28, s[2:3]
	v_mul_f32_e32 v23, v19, v27
	v_fmac_f32_e32 v28, v2, v18
	v_fma_mix_f32 v23, v18, v12, v23 op_sel:[0,1,0] op_sel_hi:[0,1,0]
	v_cndmask_b32_e64 v12, v2, v28, s[0:1]
	v_fma_mixlo_f16 v28, -v16, v12, v10 op_sel_hi:[0,0,1]
	v_cndmask_b32_e64 v12, v26, -v26, s[18:19]
	v_fma_mix_f32 v26, v17, v11, v12 op_sel:[0,1,0] op_sel_hi:[0,1,0]
	v_cndmask_b32_e64 v26, v12, v26, s[4:5]
	v_mul_f32_e32 v12, v19, v26
	v_fma_mix_f32 v12, v18, v13, v12 op_sel:[0,1,0] op_sel_hi:[0,1,0]
	v_cndmask_b32_e64 v23, v23, v27, s[2:3]
	v_cndmask_b32_e64 v12, v12, v26, s[2:3]
	v_fmac_f32_e32 v27, v23, v18
	v_fmac_f32_e32 v26, v12, v18
	v_cndmask_b32_e64 v27, v23, v27, s[0:1]
	v_cndmask_b32_e64 v13, v12, v26, s[0:1]
	v_fma_mixhi_f16 v28, -v16, v27, v10 op_sel:[0,0,1] op_sel_hi:[0,0,1]
	v_fma_mixhi_f16 v29, -v16, v13, v11 op_sel:[0,0,1] op_sel_hi:[0,0,1]
	s_and_b64 vcc, exec, s[6:7]
	global_store_dwordx2 v[8:9], v[28:29], off
	s_cbranch_vccnz .LBB2_64
; %bb.72:                               ;   in Loop: Header=BB2_65 Depth=1
	v_perm_b32 v9, v15, v24, s13
	v_perm_b32 v8, v14, v1, s13
	global_store_dwordx2 v[6:7], v[8:9], off
	s_branch .LBB2_64
.LBB2_73:                               ;   in Loop: Header=BB2_65 Depth=1
	v_mov_b32_e32 v1, v14
	v_lshrrev_b32_e32 v14, 16, v14
	v_cvt_f32_f16_e32 v23, v14
	s_and_b64 vcc, exec, s[6:7]
	s_cbranch_vccz .LBB2_67
	s_branch .LBB2_68
.LBB2_74:                               ;   in Loop: Header=BB2_65 Depth=1
	v_mov_b32_e32 v24, v15
	v_lshrrev_b32_e32 v15, 16, v15
	v_cvt_f32_f16_e32 v26, v15
	s_and_b64 vcc, exec, s[6:7]
	s_cbranch_vccz .LBB2_70
	s_branch .LBB2_71
.LBB2_75:
	s_endpgm
.LBB2_76:
                                        ; implicit-def: $sgpr12
	s_load_dword s6, s[0:1], 0x740
	v_mov_b32_e32 v16, s12
	s_branch .LBB2_5
	.section	.rodata,"a",@progbits
	.p2align	6, 0x0
	.amdhsa_kernel _ZN2at6native12_GLOBAL__N_125multi_tensor_apply_kernelINS1_18TensorListMetadataILi3EEENS1_19FusedSgdMathFunctorIN3c104HalfELi3EEEJddPfddbbbS9_S9_EEEvT_T0_DpT1_
		.amdhsa_group_segment_fixed_size 0
		.amdhsa_private_segment_fixed_size 0
		.amdhsa_kernarg_size 3472
		.amdhsa_user_sgpr_count 6
		.amdhsa_user_sgpr_private_segment_buffer 1
		.amdhsa_user_sgpr_dispatch_ptr 0
		.amdhsa_user_sgpr_queue_ptr 0
		.amdhsa_user_sgpr_kernarg_segment_ptr 1
		.amdhsa_user_sgpr_dispatch_id 0
		.amdhsa_user_sgpr_flat_scratch_init 0
		.amdhsa_user_sgpr_kernarg_preload_length 0
		.amdhsa_user_sgpr_kernarg_preload_offset 0
		.amdhsa_user_sgpr_private_segment_size 0
		.amdhsa_uses_dynamic_stack 0
		.amdhsa_system_sgpr_private_segment_wavefront_offset 0
		.amdhsa_system_sgpr_workgroup_id_x 1
		.amdhsa_system_sgpr_workgroup_id_y 0
		.amdhsa_system_sgpr_workgroup_id_z 0
		.amdhsa_system_sgpr_workgroup_info 0
		.amdhsa_system_vgpr_workitem_id 0
		.amdhsa_next_free_vgpr 37
		.amdhsa_next_free_sgpr 43
		.amdhsa_accum_offset 40
		.amdhsa_reserve_vcc 1
		.amdhsa_reserve_flat_scratch 0
		.amdhsa_float_round_mode_32 0
		.amdhsa_float_round_mode_16_64 0
		.amdhsa_float_denorm_mode_32 3
		.amdhsa_float_denorm_mode_16_64 3
		.amdhsa_dx10_clamp 1
		.amdhsa_ieee_mode 1
		.amdhsa_fp16_overflow 0
		.amdhsa_tg_split 0
		.amdhsa_exception_fp_ieee_invalid_op 0
		.amdhsa_exception_fp_denorm_src 0
		.amdhsa_exception_fp_ieee_div_zero 0
		.amdhsa_exception_fp_ieee_overflow 0
		.amdhsa_exception_fp_ieee_underflow 0
		.amdhsa_exception_fp_ieee_inexact 0
		.amdhsa_exception_int_div_zero 0
	.end_amdhsa_kernel
	.section	.text._ZN2at6native12_GLOBAL__N_125multi_tensor_apply_kernelINS1_18TensorListMetadataILi3EEENS1_19FusedSgdMathFunctorIN3c104HalfELi3EEEJddPfddbbbS9_S9_EEEvT_T0_DpT1_,"axG",@progbits,_ZN2at6native12_GLOBAL__N_125multi_tensor_apply_kernelINS1_18TensorListMetadataILi3EEENS1_19FusedSgdMathFunctorIN3c104HalfELi3EEEJddPfddbbbS9_S9_EEEvT_T0_DpT1_,comdat
.Lfunc_end2:
	.size	_ZN2at6native12_GLOBAL__N_125multi_tensor_apply_kernelINS1_18TensorListMetadataILi3EEENS1_19FusedSgdMathFunctorIN3c104HalfELi3EEEJddPfddbbbS9_S9_EEEvT_T0_DpT1_, .Lfunc_end2-_ZN2at6native12_GLOBAL__N_125multi_tensor_apply_kernelINS1_18TensorListMetadataILi3EEENS1_19FusedSgdMathFunctorIN3c104HalfELi3EEEJddPfddbbbS9_S9_EEEvT_T0_DpT1_
                                        ; -- End function
	.section	.AMDGPU.csdata,"",@progbits
; Kernel info:
; codeLenInByte = 3360
; NumSgprs: 47
; NumVgprs: 37
; NumAgprs: 0
; TotalNumVgprs: 37
; ScratchSize: 0
; MemoryBound: 0
; FloatMode: 240
; IeeeMode: 1
; LDSByteSize: 0 bytes/workgroup (compile time only)
; SGPRBlocks: 5
; VGPRBlocks: 4
; NumSGPRsForWavesPerEU: 47
; NumVGPRsForWavesPerEU: 37
; AccumOffset: 40
; Occupancy: 8
; WaveLimiterHint : 0
; COMPUTE_PGM_RSRC2:SCRATCH_EN: 0
; COMPUTE_PGM_RSRC2:USER_SGPR: 6
; COMPUTE_PGM_RSRC2:TRAP_HANDLER: 0
; COMPUTE_PGM_RSRC2:TGID_X_EN: 1
; COMPUTE_PGM_RSRC2:TGID_Y_EN: 0
; COMPUTE_PGM_RSRC2:TGID_Z_EN: 0
; COMPUTE_PGM_RSRC2:TIDIG_COMP_CNT: 0
; COMPUTE_PGM_RSRC3_GFX90A:ACCUM_OFFSET: 9
; COMPUTE_PGM_RSRC3_GFX90A:TG_SPLIT: 0
	.section	.text._ZN2at6native12_GLOBAL__N_125multi_tensor_apply_kernelINS1_18TensorListMetadataILi3EEENS1_19FusedSgdMathFunctorIN3c108BFloat16ELi3EEEJddPfddbbbS9_S9_EEEvT_T0_DpT1_,"axG",@progbits,_ZN2at6native12_GLOBAL__N_125multi_tensor_apply_kernelINS1_18TensorListMetadataILi3EEENS1_19FusedSgdMathFunctorIN3c108BFloat16ELi3EEEJddPfddbbbS9_S9_EEEvT_T0_DpT1_,comdat
	.globl	_ZN2at6native12_GLOBAL__N_125multi_tensor_apply_kernelINS1_18TensorListMetadataILi3EEENS1_19FusedSgdMathFunctorIN3c108BFloat16ELi3EEEJddPfddbbbS9_S9_EEEvT_T0_DpT1_ ; -- Begin function _ZN2at6native12_GLOBAL__N_125multi_tensor_apply_kernelINS1_18TensorListMetadataILi3EEENS1_19FusedSgdMathFunctorIN3c108BFloat16ELi3EEEJddPfddbbbS9_S9_EEEvT_T0_DpT1_
	.p2align	8
	.type	_ZN2at6native12_GLOBAL__N_125multi_tensor_apply_kernelINS1_18TensorListMetadataILi3EEENS1_19FusedSgdMathFunctorIN3c108BFloat16ELi3EEEJddPfddbbbS9_S9_EEEvT_T0_DpT1_,@function
_ZN2at6native12_GLOBAL__N_125multi_tensor_apply_kernelINS1_18TensorListMetadataILi3EEENS1_19FusedSgdMathFunctorIN3c108BFloat16ELi3EEEJddPfddbbbS9_S9_EEEvT_T0_DpT1_: ; @_ZN2at6native12_GLOBAL__N_125multi_tensor_apply_kernelINS1_18TensorListMetadataILi3EEENS1_19FusedSgdMathFunctorIN3c108BFloat16ELi3EEEJddPfddbbbS9_S9_EEEvT_T0_DpT1_
; %bb.0:
	s_load_dwordx4 s[20:23], s[4:5], 0xc80
	s_waitcnt lgkmcnt(0)
	s_cmp_eq_u64 s[22:23], 0
	s_cselect_b64 s[0:1], -1, 0
	s_and_b64 vcc, exec, s[0:1]
	s_cbranch_vccnz .LBB3_2
; %bb.1:
	s_load_dword s0, s[22:23], 0x0
	s_waitcnt lgkmcnt(0)
	v_cmp_neq_f32_e64 s[0:1], s0, 1.0
.LBB3_2:
	s_andn2_b64 vcc, exec, s[0:1]
	s_cbranch_vccnz .LBB3_76
; %bb.3:
	v_mov_b32_e32 v1, s6
	global_load_ubyte v1, v1, s[4:5] offset:1536
	s_load_dwordx2 s[16:17], s[4:5], 0xc70
	s_load_dwordx8 s[8:15], s[4:5], 0xc50
	s_add_u32 s0, s4, s6
	s_mul_hi_u32 s1, s6, 3
	s_mul_i32 s6, s6, 3
	s_addc_u32 s2, s5, 0
	s_add_u32 s0, s0, s6
	s_addc_u32 s1, s2, s1
	s_waitcnt lgkmcnt(0)
	s_cmp_eq_u64 s[12:13], 0
	s_mov_b64 s[2:3], 0
	s_waitcnt vmcnt(0)
	v_readfirstlane_b32 s7, v1
	s_cbranch_scc1 .LBB3_77
; %bb.4:
	s_load_dword s12, s[12:13], 0x0
	s_nop 0
	s_load_dword s6, s[0:1], 0x740
	s_andn2_b64 vcc, exec, s[2:3]
	s_waitcnt lgkmcnt(0)
	v_mov_b32_e32 v18, s12
	s_cbranch_vccnz .LBB3_6
.LBB3_5:
	v_cvt_f32_f64_e32 v18, s[14:15]
.LBB3_6:
	s_load_dword s2, s[4:5], 0xc78
	v_cvt_f32_f64_e32 v19, s[8:9]
	v_cvt_f32_f64_e32 v20, s[10:11]
	;; [unrolled: 1-line block ×3, first 2 shown]
	s_waitcnt lgkmcnt(0)
	s_bitcmp1_b32 s2, 0
	s_cselect_b64 s[0:1], -1, 0
	s_bitcmp1_b32 s2, 8
	s_cselect_b64 s[18:19], -1, 0
	;; [unrolled: 2-line block ×3, first 2 shown]
	s_and_b32 s7, s7, 0xff
	s_lshl_b32 s22, s7, 3
	s_load_dwordx2 s[8:9], s[4:5], s22 offset:0x480
	s_ashr_i32 s7, s6, 31
	s_lshl_b64 s[10:11], s[6:7], 16
	s_load_dwordx2 s[12:13], s[4:5], s22 offset:0x0
	s_load_dwordx2 s[14:15], s[4:5], s22 offset:0x180
	;; [unrolled: 1-line block ×3, first 2 shown]
	s_waitcnt lgkmcnt(0)
	s_sub_u32 s22, s8, s10
	s_subb_u32 s23, s9, s11
	s_lshl_b64 s[6:7], s[6:7], 17
	s_add_u32 s33, s12, s6
	s_addc_u32 s36, s13, s7
	s_and_b32 s9, s33, 7
	s_add_u32 s34, s14, s6
	s_addc_u32 s37, s15, s7
	s_and_b32 s10, s34, 7
	;; [unrolled: 3-line block ×3, first 2 shown]
	s_and_b32 s7, s8, 3
	s_or_b32 s6, s7, s6
	s_or_b32 s6, s6, s10
	;; [unrolled: 1-line block ×3, first 2 shown]
	s_mov_b32 s7, 0
	s_cmp_eq_u64 s[6:7], 0
	s_mov_b64 s[6:7], -1
	s_cbranch_scc1 .LBB3_62
; %bb.7:
	v_cmp_lt_i64_e64 s[6:7], s[22:23], 1
	s_and_b64 vcc, exec, s[6:7]
	s_cbranch_vccnz .LBB3_61
; %bb.8:
	s_load_dword s8, s[4:5], 0xc9c
	v_mov_b32_e32 v2, 0x10000
	v_mov_b32_e32 v3, 0
	v_cmp_lt_i64_e32 vcc, s[22:23], v[2:3]
	s_and_b64 s[6:7], vcc, exec
	s_cselect_b32 s25, s23, 0
	s_cselect_b32 s24, s22, 0x10000
	s_waitcnt lgkmcnt(0)
	s_and_b32 s40, s8, 0xffff
	s_lshl_b32 s41, s40, 1
	s_mov_b32 s39, 0
	s_cmp_lg_u64 s[20:21], 0
	v_mov_b32_e32 v3, 0
	s_mul_i32 s42, s40, 3
	s_mov_b32 s43, s39
	s_mov_b64 s[26:27], 0
	s_cselect_b64 s[28:29], -1, 0
	v_cmp_neq_f32_e64 s[6:7], 0, v19
	v_sub_f32_e32 v22, 1.0, v21
	s_lshl_b32 s44, s40, 2
	v_mov_b32_e32 v23, s39
	v_mov_b32_e32 v24, s39
	s_movk_i32 s45, 0x7fff
	v_mov_b32_e32 v25, 0x7fc0
	v_mov_b32_e32 v26, 0x7fc00000
	s_branch .LBB3_10
.LBB3_9:                                ;   in Loop: Header=BB3_10 Depth=1
	s_or_b64 exec, exec, s[8:9]
	s_add_i32 s26, s26, s44
	s_ashr_i32 s27, s26, 31
	v_pk_mov_b32 v[4:5], s[24:25], s[24:25] op_sel:[0,1]
	v_cmp_lt_i64_e32 vcc, s[26:27], v[4:5]
	s_cbranch_vccz .LBB3_61
.LBB3_10:                               ; =>This Inner Loop Header: Depth=1
	v_mov_b32_e32 v1, s27
	v_add_co_u32_e32 v4, vcc, s26, v0
	v_addc_co_u32_e32 v5, vcc, 0, v1, vcc
	v_pk_mov_b32 v[10:11], 0, 0
	v_cmp_gt_i64_e64 s[8:9], s[24:25], v[4:5]
	v_pk_mov_b32 v[14:15], v[10:11], v[10:11] op_sel:[0,1]
	v_mov_b32_e32 v1, 0
	s_and_saveexec_b64 s[10:11], s[8:9]
	s_cbranch_execz .LBB3_12
; %bb.11:                               ;   in Loop: Header=BB3_10 Depth=1
	v_lshlrev_b64 v[6:7], 1, v[4:5]
	v_mov_b32_e32 v2, s36
	v_add_co_u32_e32 v8, vcc, s33, v6
	v_addc_co_u32_e32 v9, vcc, v2, v7, vcc
	v_mov_b32_e32 v1, s37
	v_add_co_u32_e32 v6, vcc, s34, v6
	global_load_ushort v2, v[8:9], off
	v_addc_co_u32_e32 v7, vcc, v1, v7, vcc
	global_load_ushort v1, v[6:7], off
	v_mov_b32_e32 v15, s39
	s_waitcnt vmcnt(1)
	v_and_b32_e32 v14, 0xffff, v2
.LBB3_12:                               ;   in Loop: Header=BB3_10 Depth=1
	s_or_b64 exec, exec, s[10:11]
	s_and_saveexec_b64 s[10:11], s[8:9]
	s_cbranch_execz .LBB3_14
; %bb.13:                               ;   in Loop: Header=BB3_10 Depth=1
	v_lshlrev_b64 v[6:7], 1, v[4:5]
	v_mov_b32_e32 v2, s38
	v_add_co_u32_e32 v6, vcc, s35, v6
	v_addc_co_u32_e32 v7, vcc, v2, v7, vcc
	global_load_ushort v2, v[6:7], off
	v_mov_b32_e32 v11, s39
	s_waitcnt vmcnt(0)
	v_and_b32_e32 v10, 0xffff, v2
.LBB3_14:                               ;   in Loop: Header=BB3_10 Depth=1
	s_or_b64 exec, exec, s[10:11]
	v_add_co_u32_e32 v6, vcc, s40, v4
	v_addc_co_u32_e32 v7, vcc, v5, v23, vcc
	v_cmp_gt_i64_e64 s[10:11], s[24:25], v[6:7]
	v_mov_b32_e32 v27, 0
	s_and_saveexec_b64 s[12:13], s[10:11]
	s_cbranch_execz .LBB3_16
; %bb.15:                               ;   in Loop: Header=BB3_10 Depth=1
	v_lshlrev_b64 v[8:9], 1, v[6:7]
	v_mov_b32_e32 v2, s36
	v_add_co_u32_e32 v12, vcc, s33, v8
	v_addc_co_u32_e32 v13, vcc, v2, v9, vcc
	global_load_ushort v2, v[12:13], off
	v_mov_b32_e32 v12, s37
	v_add_co_u32_e32 v8, vcc, s34, v8
	v_addc_co_u32_e32 v9, vcc, v12, v9, vcc
	global_load_ushort v27, v[8:9], off
	s_waitcnt vmcnt(1)
	v_lshl_or_b32 v14, v2, 16, v14
.LBB3_16:                               ;   in Loop: Header=BB3_10 Depth=1
	s_or_b64 exec, exec, s[12:13]
	s_and_saveexec_b64 s[12:13], s[10:11]
	s_cbranch_execz .LBB3_18
; %bb.17:                               ;   in Loop: Header=BB3_10 Depth=1
	v_lshlrev_b64 v[8:9], 1, v[6:7]
	v_mov_b32_e32 v2, s38
	v_add_co_u32_e32 v8, vcc, s35, v8
	v_addc_co_u32_e32 v9, vcc, v2, v9, vcc
	global_load_ushort v2, v[8:9], off
	s_waitcnt vmcnt(0)
	v_lshl_or_b32 v10, v2, 16, v10
.LBB3_18:                               ;   in Loop: Header=BB3_10 Depth=1
	s_or_b64 exec, exec, s[12:13]
	v_add_co_u32_e32 v8, vcc, s41, v4
	v_addc_co_u32_e32 v9, vcc, v5, v24, vcc
	v_cmp_gt_i64_e64 s[12:13], s[24:25], v[8:9]
	v_mov_b32_e32 v29, 0
	s_and_saveexec_b64 s[14:15], s[12:13]
	s_cbranch_execz .LBB3_20
; %bb.19:                               ;   in Loop: Header=BB3_10 Depth=1
	v_lshlrev_b64 v[12:13], 1, v[8:9]
	v_mov_b32_e32 v2, s36
	v_add_co_u32_e32 v16, vcc, s33, v12
	v_addc_co_u32_e32 v17, vcc, v2, v13, vcc
	global_load_ushort v2, v[16:17], off
	v_mov_b32_e32 v16, s37
	v_add_co_u32_e32 v12, vcc, s34, v12
	v_addc_co_u32_e32 v13, vcc, v16, v13, vcc
	global_load_ushort v29, v[12:13], off
	s_waitcnt vmcnt(1)
	v_or_b32_e32 v15, v2, v15
.LBB3_20:                               ;   in Loop: Header=BB3_10 Depth=1
	s_or_b64 exec, exec, s[14:15]
	s_and_saveexec_b64 s[14:15], s[12:13]
	s_cbranch_execz .LBB3_22
; %bb.21:                               ;   in Loop: Header=BB3_10 Depth=1
	v_lshlrev_b64 v[12:13], 1, v[8:9]
	v_mov_b32_e32 v2, s38
	v_add_co_u32_e32 v12, vcc, s35, v12
	v_addc_co_u32_e32 v13, vcc, v2, v13, vcc
	global_load_ushort v2, v[12:13], off
	s_waitcnt vmcnt(0)
	v_or_b32_e32 v11, v2, v11
.LBB3_22:                               ;   in Loop: Header=BB3_10 Depth=1
	s_or_b64 exec, exec, s[14:15]
	v_mov_b32_e32 v2, s43
	v_add_co_u32_e32 v12, vcc, s42, v4
	v_addc_co_u32_e32 v13, vcc, v5, v2, vcc
	v_cmp_gt_i64_e64 s[14:15], s[24:25], v[12:13]
	v_mov_b32_e32 v30, 0
	s_and_saveexec_b64 s[16:17], s[14:15]
	s_cbranch_execz .LBB3_24
; %bb.23:                               ;   in Loop: Header=BB3_10 Depth=1
	v_lshlrev_b64 v[16:17], 1, v[12:13]
	v_mov_b32_e32 v2, s36
	v_add_co_u32_e32 v30, vcc, s33, v16
	v_addc_co_u32_e32 v31, vcc, v2, v17, vcc
	global_load_ushort v2, v[30:31], off
	v_mov_b32_e32 v28, s37
	v_add_co_u32_e32 v16, vcc, s34, v16
	v_addc_co_u32_e32 v17, vcc, v28, v17, vcc
	global_load_ushort v30, v[16:17], off
	s_waitcnt vmcnt(1)
	v_lshlrev_b32_e32 v2, 16, v2
	v_or_b32_e32 v15, v2, v15
.LBB3_24:                               ;   in Loop: Header=BB3_10 Depth=1
	s_or_b64 exec, exec, s[16:17]
	s_and_saveexec_b64 s[16:17], s[14:15]
	s_cbranch_execz .LBB3_26
; %bb.25:                               ;   in Loop: Header=BB3_10 Depth=1
	v_lshlrev_b64 v[16:17], 1, v[12:13]
	v_mov_b32_e32 v2, s38
	v_add_co_u32_e32 v16, vcc, s35, v16
	v_addc_co_u32_e32 v17, vcc, v2, v17, vcc
	global_load_ushort v2, v[16:17], off
	s_waitcnt vmcnt(0)
	v_lshlrev_b32_e32 v2, 16, v2
	v_or_b32_e32 v11, v2, v11
.LBB3_26:                               ;   in Loop: Header=BB3_10 Depth=1
	s_or_b64 exec, exec, s[16:17]
	v_cndmask_b32_e64 v2, 0, 1, s[28:29]
	v_cmp_ne_u32_e64 s[16:17], 1, v2
	s_andn2_b64 vcc, exec, s[28:29]
	s_waitcnt vmcnt(0)
	v_lshlrev_b32_e32 v28, 16, v1
	s_cbranch_vccnz .LBB3_28
; %bb.27:                               ;   in Loop: Header=BB3_10 Depth=1
	s_load_dword s27, s[20:21], 0x0
	s_waitcnt lgkmcnt(0)
	v_div_scale_f32 v1, s[30:31], s27, s27, v28
	v_rcp_f32_e32 v2, v1
	v_div_scale_f32 v16, vcc, v28, s27, v28
	v_fma_f32 v17, -v1, v2, 1.0
	v_fmac_f32_e32 v2, v17, v2
	v_mul_f32_e32 v17, v16, v2
	v_fma_f32 v31, -v1, v17, v16
	v_fmac_f32_e32 v17, v31, v2
	v_fma_f32 v1, -v1, v17, v16
	v_div_fmas_f32 v1, v1, v2, v17
	v_div_fixup_f32 v28, v1, s27, v28
	v_bfe_u32 v1, v28, 16, 1
	v_add3_u32 v1, v28, v1, s45
	v_lshrrev_b32_e32 v1, 16, v1
	v_cmp_o_f32_e32 vcc, v28, v28
	v_cndmask_b32_e32 v2, v25, v1, vcc
	v_pk_mov_b32 v[16:17], v[2:3], v[2:3] op_sel:[0,1]
	s_branch .LBB3_29
.LBB3_28:                               ;   in Loop: Header=BB3_10 Depth=1
	v_and_b32_e32 v16, 0xffff, v1
	v_mov_b32_e32 v17, s39
.LBB3_29:                               ;   in Loop: Header=BB3_10 Depth=1
	v_lshlrev_b32_e32 v27, 16, v27
	v_and_b32_e32 v1, 0xffff, v29
	v_lshlrev_b32_e32 v2, 16, v30
	v_or_b32_e32 v16, v16, v27
	v_or3_b32 v1, v2, v1, v17
	v_or3_b32 v2, 0, 0, v16
	s_and_b64 vcc, exec, s[16:17]
	v_and_b32_e32 v17, 0xffff0000, v16
	s_cbranch_vccnz .LBB3_31
; %bb.30:                               ;   in Loop: Header=BB3_10 Depth=1
	s_load_dword s27, s[20:21], 0x0
	s_waitcnt lgkmcnt(0)
	v_div_scale_f32 v16, s[30:31], s27, s27, v17
	v_rcp_f32_e32 v27, v16
	v_div_scale_f32 v29, vcc, v17, s27, v17
	v_fma_f32 v30, -v16, v27, 1.0
	v_fmac_f32_e32 v27, v30, v27
	v_mul_f32_e32 v30, v29, v27
	v_fma_f32 v31, -v16, v30, v29
	v_fmac_f32_e32 v30, v31, v27
	v_fma_f32 v16, -v16, v30, v29
	v_div_fmas_f32 v16, v16, v27, v30
	v_div_fixup_f32 v17, v16, s27, v17
	v_bfe_u32 v16, v17, 16, 1
	v_add3_u32 v16, v17, v16, s45
	v_and_b32_e32 v16, 0xffff0000, v16
	v_cmp_o_f32_e32 vcc, v17, v17
	v_cndmask_b32_e32 v16, v26, v16, vcc
	v_or_b32_sdwa v2, v16, v2 dst_sel:DWORD dst_unused:UNUSED_PAD src0_sel:DWORD src1_sel:WORD_0
.LBB3_31:                               ;   in Loop: Header=BB3_10 Depth=1
	v_alignbit_b32 v16, v1, v2, 16
	s_and_b64 vcc, exec, s[16:17]
	v_and_b32_e32 v27, 0xffff0000, v16
	s_cbranch_vccnz .LBB3_33
; %bb.32:                               ;   in Loop: Header=BB3_10 Depth=1
	s_load_dword s27, s[20:21], 0x0
	v_and_b32_e32 v1, 0xffff0000, v1
	s_waitcnt lgkmcnt(0)
	v_div_scale_f32 v16, s[30:31], s27, s27, v27
	v_rcp_f32_e32 v29, v16
	v_div_scale_f32 v30, vcc, v27, s27, v27
	v_fma_f32 v31, -v16, v29, 1.0
	v_fmac_f32_e32 v29, v31, v29
	v_mul_f32_e32 v31, v30, v29
	v_fma_f32 v32, -v16, v31, v30
	v_fmac_f32_e32 v31, v32, v29
	v_fma_f32 v16, -v16, v31, v30
	v_div_fmas_f32 v16, v16, v29, v31
	v_div_fixup_f32 v27, v16, s27, v27
	v_bfe_u32 v16, v27, 16, 1
	v_add3_u32 v16, v27, v16, s45
	v_lshrrev_b32_e32 v16, 16, v16
	v_cmp_o_f32_e32 vcc, v27, v27
	v_cndmask_b32_e32 v16, v25, v16, vcc
	v_or_b32_e32 v1, v16, v1
.LBB3_33:                               ;   in Loop: Header=BB3_10 Depth=1
	s_and_b64 vcc, exec, s[16:17]
	v_and_b32_e32 v29, 0xffff0000, v1
	s_cbranch_vccnz .LBB3_35
; %bb.34:                               ;   in Loop: Header=BB3_10 Depth=1
	s_load_dword s27, s[20:21], 0x0
	v_and_b32_e32 v1, 0xffff, v1
	s_waitcnt lgkmcnt(0)
	v_div_scale_f32 v16, s[30:31], s27, s27, v29
	v_rcp_f32_e32 v30, v16
	v_div_scale_f32 v31, vcc, v29, s27, v29
	v_fma_f32 v32, -v16, v30, 1.0
	v_fmac_f32_e32 v30, v32, v30
	v_mul_f32_e32 v32, v31, v30
	v_fma_f32 v33, -v16, v32, v31
	v_fmac_f32_e32 v32, v33, v30
	v_fma_f32 v16, -v16, v32, v31
	v_div_fmas_f32 v16, v16, v30, v32
	v_div_fixup_f32 v29, v16, s27, v29
	v_bfe_u32 v16, v29, 16, 1
	v_add3_u32 v16, v29, v16, s45
	v_and_b32_e32 v16, 0xffff0000, v16
	v_cmp_o_f32_e32 vcc, v29, v29
	v_cndmask_b32_e32 v16, v26, v16, vcc
	v_or_b32_e32 v1, v16, v1
.LBB3_35:                               ;   in Loop: Header=BB3_10 Depth=1
	v_lshlrev_b32_e32 v30, 16, v14
	v_cndmask_b32_e64 v16, v28, -v28, s[18:19]
	v_fma_f32 v28, v19, v30, v16
	v_cndmask_b32_e64 v28, v16, v28, s[6:7]
	v_lshlrev_b32_e32 v16, 16, v10
	v_mul_f32_e32 v31, v22, v28
	v_fmac_f32_e32 v31, v20, v16
	v_cndmask_b32_e64 v16, v31, v28, s[2:3]
	s_and_saveexec_b64 s[30:31], s[8:9]
	s_cbranch_execz .LBB3_37
; %bb.36:                               ;   in Loop: Header=BB3_10 Depth=1
	v_fmac_f32_e32 v28, v16, v20
	v_cndmask_b32_e64 v28, v16, v28, s[0:1]
	v_fma_f32 v28, -v18, v28, v30
	v_bfe_u32 v30, v28, 16, 1
	v_add3_u32 v30, v28, v30, s45
	v_lshrrev_b32_e32 v30, 16, v30
	v_cmp_o_f32_e32 vcc, v28, v28
	v_cndmask_b32_e32 v28, v25, v30, vcc
	v_lshlrev_b64 v[30:31], 1, v[4:5]
	v_mov_b32_e32 v32, s36
	v_add_co_u32_e32 v30, vcc, s33, v30
	v_addc_co_u32_e32 v31, vcc, v32, v31, vcc
	global_store_short v[30:31], v28, off
.LBB3_37:                               ;   in Loop: Header=BB3_10 Depth=1
	s_or_b64 exec, exec, s[30:31]
	v_and_b32_e32 v28, 0xffff0000, v14
	v_cndmask_b32_e64 v17, v17, -v17, s[18:19]
	v_fma_f32 v30, v19, v28, v17
	v_cndmask_b32_e64 v30, v17, v30, s[6:7]
	v_and_b32_e32 v17, 0xffff0000, v10
	v_mul_f32_e32 v31, v22, v30
	v_fmac_f32_e32 v31, v20, v17
	v_cndmask_b32_e64 v17, v31, v30, s[2:3]
	s_and_saveexec_b64 s[30:31], s[10:11]
	s_cbranch_execz .LBB3_39
; %bb.38:                               ;   in Loop: Header=BB3_10 Depth=1
	v_fmac_f32_e32 v30, v17, v20
	v_cndmask_b32_e64 v30, v17, v30, s[0:1]
	v_fma_f32 v28, -v18, v30, v28
	v_bfe_u32 v30, v28, 16, 1
	v_add3_u32 v30, v28, v30, s45
	v_lshrrev_b32_e32 v30, 16, v30
	v_cmp_o_f32_e32 vcc, v28, v28
	v_cndmask_b32_e32 v28, v25, v30, vcc
	v_lshlrev_b64 v[30:31], 1, v[6:7]
	v_mov_b32_e32 v32, s36
	v_add_co_u32_e32 v30, vcc, s33, v30
	v_addc_co_u32_e32 v31, vcc, v32, v31, vcc
	global_store_short v[30:31], v28, off
.LBB3_39:                               ;   in Loop: Header=BB3_10 Depth=1
	s_or_b64 exec, exec, s[30:31]
	v_alignbit_b32 v14, v15, v14, 16
	v_and_b32_e32 v14, 0xffff0000, v14
	v_cndmask_b32_e64 v27, v27, -v27, s[18:19]
	v_fma_f32 v28, v19, v14, v27
	v_cndmask_b32_e64 v27, v27, v28, s[6:7]
	v_alignbit_b32 v10, v11, v10, 16
	v_and_b32_e32 v10, 0xffff0000, v10
	v_mul_f32_e32 v28, v22, v27
	v_fmac_f32_e32 v28, v20, v10
	v_cndmask_b32_e64 v10, v28, v27, s[2:3]
	s_and_saveexec_b64 s[30:31], s[12:13]
	s_cbranch_execz .LBB3_41
; %bb.40:                               ;   in Loop: Header=BB3_10 Depth=1
	v_fmac_f32_e32 v27, v10, v20
	v_cndmask_b32_e64 v27, v10, v27, s[0:1]
	v_fma_f32 v14, -v18, v27, v14
	v_bfe_u32 v27, v14, 16, 1
	v_add3_u32 v27, v14, v27, s45
	v_lshrrev_b32_e32 v27, 16, v27
	v_cmp_o_f32_e32 vcc, v14, v14
	v_lshlrev_b64 v[30:31], 1, v[8:9]
	v_cndmask_b32_e32 v14, v25, v27, vcc
	v_mov_b32_e32 v27, s36
	v_add_co_u32_e32 v30, vcc, s33, v30
	v_addc_co_u32_e32 v31, vcc, v27, v31, vcc
	global_store_short v[30:31], v14, off
.LBB3_41:                               ;   in Loop: Header=BB3_10 Depth=1
	s_or_b64 exec, exec, s[30:31]
	v_and_b32_e32 v14, 0xffff0000, v15
	v_cndmask_b32_e64 v15, v29, -v29, s[18:19]
	v_fma_f32 v27, v19, v14, v15
	v_cndmask_b32_e64 v15, v15, v27, s[6:7]
	v_and_b32_e32 v11, 0xffff0000, v11
	v_mul_f32_e32 v27, v22, v15
	v_fmac_f32_e32 v27, v20, v11
	v_cndmask_b32_e64 v11, v27, v15, s[2:3]
	s_and_saveexec_b64 s[30:31], s[14:15]
	s_cbranch_execz .LBB3_43
; %bb.42:                               ;   in Loop: Header=BB3_10 Depth=1
	v_fmac_f32_e32 v15, v11, v20
	v_cndmask_b32_e64 v15, v11, v15, s[0:1]
	v_fma_f32 v14, -v18, v15, v14
	v_bfe_u32 v15, v14, 16, 1
	v_add3_u32 v15, v14, v15, s45
	v_lshrrev_b32_e32 v15, 16, v15
	v_cmp_o_f32_e32 vcc, v14, v14
	v_cndmask_b32_e32 v27, v25, v15, vcc
	v_lshlrev_b64 v[14:15], 1, v[12:13]
	v_mov_b32_e32 v28, s36
	v_add_co_u32_e32 v14, vcc, s33, v14
	v_addc_co_u32_e32 v15, vcc, v28, v15, vcc
	global_store_short v[14:15], v27, off
.LBB3_43:                               ;   in Loop: Header=BB3_10 Depth=1
	s_or_b64 exec, exec, s[30:31]
	s_and_b64 vcc, exec, s[16:17]
	s_cbranch_vccnz .LBB3_50
; %bb.44:                               ;   in Loop: Header=BB3_10 Depth=1
	s_and_saveexec_b64 s[16:17], s[8:9]
	s_cbranch_execnz .LBB3_58
; %bb.45:                               ;   in Loop: Header=BB3_10 Depth=1
	s_or_b64 exec, exec, s[16:17]
	s_and_saveexec_b64 s[16:17], s[10:11]
	s_cbranch_execnz .LBB3_59
.LBB3_46:                               ;   in Loop: Header=BB3_10 Depth=1
	s_or_b64 exec, exec, s[16:17]
	s_and_saveexec_b64 s[16:17], s[12:13]
	s_cbranch_execnz .LBB3_60
.LBB3_47:                               ;   in Loop: Header=BB3_10 Depth=1
	s_or_b64 exec, exec, s[16:17]
	s_and_saveexec_b64 s[16:17], s[14:15]
	s_cbranch_execz .LBB3_49
.LBB3_48:                               ;   in Loop: Header=BB3_10 Depth=1
	v_lshlrev_b64 v[14:15], 1, v[12:13]
	v_mov_b32_e32 v2, s37
	v_add_co_u32_e32 v14, vcc, s34, v14
	v_addc_co_u32_e32 v15, vcc, v2, v15, vcc
	global_store_short_d16_hi v[14:15], v1, off
.LBB3_49:                               ;   in Loop: Header=BB3_10 Depth=1
	s_or_b64 exec, exec, s[16:17]
.LBB3_50:                               ;   in Loop: Header=BB3_10 Depth=1
	s_and_saveexec_b64 s[16:17], s[8:9]
	s_cbranch_execnz .LBB3_54
; %bb.51:                               ;   in Loop: Header=BB3_10 Depth=1
	s_or_b64 exec, exec, s[16:17]
	s_and_saveexec_b64 s[8:9], s[10:11]
	s_cbranch_execnz .LBB3_55
.LBB3_52:                               ;   in Loop: Header=BB3_10 Depth=1
	s_or_b64 exec, exec, s[8:9]
	s_and_saveexec_b64 s[8:9], s[12:13]
	s_cbranch_execnz .LBB3_56
.LBB3_53:                               ;   in Loop: Header=BB3_10 Depth=1
	s_or_b64 exec, exec, s[8:9]
	s_and_saveexec_b64 s[8:9], s[14:15]
	s_cbranch_execz .LBB3_9
	s_branch .LBB3_57
.LBB3_54:                               ;   in Loop: Header=BB3_10 Depth=1
	v_bfe_u32 v1, v16, 16, 1
	v_add3_u32 v1, v16, v1, s45
	v_lshrrev_b32_e32 v1, 16, v1
	v_cmp_o_f32_e32 vcc, v16, v16
	v_lshlrev_b64 v[4:5], 1, v[4:5]
	v_cndmask_b32_e32 v1, v25, v1, vcc
	v_mov_b32_e32 v2, s38
	v_add_co_u32_e32 v4, vcc, s35, v4
	v_addc_co_u32_e32 v5, vcc, v2, v5, vcc
	global_store_short v[4:5], v1, off
	s_or_b64 exec, exec, s[16:17]
	s_and_saveexec_b64 s[8:9], s[10:11]
	s_cbranch_execz .LBB3_52
.LBB3_55:                               ;   in Loop: Header=BB3_10 Depth=1
	v_bfe_u32 v1, v17, 16, 1
	v_add3_u32 v1, v17, v1, s45
	v_lshrrev_b32_e32 v1, 16, v1
	v_cmp_o_f32_e32 vcc, v17, v17
	v_lshlrev_b64 v[4:5], 1, v[6:7]
	v_cndmask_b32_e32 v1, v25, v1, vcc
	v_mov_b32_e32 v2, s38
	v_add_co_u32_e32 v4, vcc, s35, v4
	v_addc_co_u32_e32 v5, vcc, v2, v5, vcc
	global_store_short v[4:5], v1, off
	s_or_b64 exec, exec, s[8:9]
	s_and_saveexec_b64 s[8:9], s[12:13]
	s_cbranch_execz .LBB3_53
.LBB3_56:                               ;   in Loop: Header=BB3_10 Depth=1
	v_bfe_u32 v1, v10, 16, 1
	v_add3_u32 v1, v10, v1, s45
	v_lshrrev_b32_e32 v1, 16, v1
	v_cmp_o_f32_e32 vcc, v10, v10
	v_lshlrev_b64 v[4:5], 1, v[8:9]
	v_cndmask_b32_e32 v1, v25, v1, vcc
	v_mov_b32_e32 v2, s38
	v_add_co_u32_e32 v4, vcc, s35, v4
	v_addc_co_u32_e32 v5, vcc, v2, v5, vcc
	global_store_short v[4:5], v1, off
	s_or_b64 exec, exec, s[8:9]
	s_and_saveexec_b64 s[8:9], s[14:15]
	s_cbranch_execz .LBB3_9
.LBB3_57:                               ;   in Loop: Header=BB3_10 Depth=1
	v_bfe_u32 v1, v11, 16, 1
	v_add3_u32 v1, v11, v1, s45
	v_lshrrev_b32_e32 v1, 16, v1
	v_cmp_o_f32_e32 vcc, v11, v11
	v_lshlrev_b64 v[4:5], 1, v[12:13]
	v_cndmask_b32_e32 v1, v25, v1, vcc
	v_mov_b32_e32 v2, s38
	v_add_co_u32_e32 v4, vcc, s35, v4
	v_addc_co_u32_e32 v5, vcc, v2, v5, vcc
	global_store_short v[4:5], v1, off
	s_branch .LBB3_9
.LBB3_58:                               ;   in Loop: Header=BB3_10 Depth=1
	v_lshlrev_b64 v[14:15], 1, v[4:5]
	v_mov_b32_e32 v27, s37
	v_add_co_u32_e32 v14, vcc, s34, v14
	v_addc_co_u32_e32 v15, vcc, v27, v15, vcc
	global_store_short v[14:15], v2, off
	s_or_b64 exec, exec, s[16:17]
	s_and_saveexec_b64 s[16:17], s[10:11]
	s_cbranch_execz .LBB3_46
.LBB3_59:                               ;   in Loop: Header=BB3_10 Depth=1
	v_lshlrev_b64 v[14:15], 1, v[6:7]
	v_mov_b32_e32 v27, s37
	v_add_co_u32_e32 v14, vcc, s34, v14
	v_addc_co_u32_e32 v15, vcc, v27, v15, vcc
	global_store_short_d16_hi v[14:15], v2, off
	s_or_b64 exec, exec, s[16:17]
	s_and_saveexec_b64 s[16:17], s[12:13]
	s_cbranch_execz .LBB3_47
.LBB3_60:                               ;   in Loop: Header=BB3_10 Depth=1
	v_lshlrev_b64 v[14:15], 1, v[8:9]
	v_mov_b32_e32 v2, s37
	v_add_co_u32_e32 v14, vcc, s34, v14
	v_addc_co_u32_e32 v15, vcc, v2, v15, vcc
	global_store_short v[14:15], v1, off
	s_or_b64 exec, exec, s[16:17]
	s_and_saveexec_b64 s[16:17], s[14:15]
	s_cbranch_execnz .LBB3_48
	s_branch .LBB3_49
.LBB3_61:
	s_mov_b64 s[6:7], 0
.LBB3_62:
	s_andn2_b64 vcc, exec, s[6:7]
	s_cbranch_vccnz .LBB3_76
; %bb.63:
	v_mov_b32_e32 v3, 0
	v_lshlrev_b32_e32 v2, 2, v0
	v_cmp_gt_i64_e32 vcc, s[22:23], v[2:3]
	s_and_saveexec_b64 s[6:7], vcc
	s_cbranch_execz .LBB3_76
; %bb.64:
	s_load_dword s8, s[4:5], 0xc9c
	s_cmp_lg_u64 s[20:21], 0
	s_cselect_b64 s[6:7], -1, 0
	v_cndmask_b32_e64 v2, 0, 1, s[6:7]
	v_mov_b32_e32 v1, v3
	s_mov_b64 s[10:11], 0
	v_cmp_neq_f32_e64 s[4:5], 0, v19
	v_sub_f32_e32 v16, 1.0, v21
	s_waitcnt lgkmcnt(0)
	s_and_b32 s12, s8, 0xffff
	v_mov_b32_e32 v17, s36
	v_mov_b32_e32 v21, s37
	;; [unrolled: 1-line block ×3, first 2 shown]
	v_cmp_ne_u32_e64 s[6:7], 1, v2
	s_movk_i32 s13, 0x7fff
	s_movk_i32 s14, 0x3fff
	v_mov_b32_e32 v23, 0x7fc0
	v_mov_b32_e32 v24, 0x7fc00000
	s_branch .LBB3_66
.LBB3_65:                               ;   in Loop: Header=BB3_66 Depth=1
	v_bfe_u32 v6, v1, 16, 1
	v_add3_u32 v6, v1, v6, s13
	v_lshrrev_b32_e32 v6, 16, v6
	v_cmp_o_f32_e32 vcc, v1, v1
	v_cndmask_b32_e32 v1, v23, v6, vcc
	v_bfe_u32 v6, v2, 16, 1
	v_add3_u32 v6, v2, v6, s13
	v_and_b32_e32 v6, 0xffff0000, v6
	v_cmp_o_f32_e32 vcc, v2, v2
	v_cndmask_b32_e32 v2, v24, v6, vcc
	v_or_b32_e32 v1, v2, v1
	v_bfe_u32 v2, v12, 16, 1
	v_add3_u32 v2, v12, v2, s13
	v_bfe_u32 v6, v13, 16, 1
	v_lshrrev_b32_e32 v2, 16, v2
	v_cmp_o_f32_e32 vcc, v12, v12
	v_add3_u32 v6, v13, v6, s13
	v_cndmask_b32_e32 v2, v23, v2, vcc
	v_and_b32_e32 v6, 0xffff0000, v6
	v_cmp_o_f32_e32 vcc, v13, v13
	v_cndmask_b32_e32 v6, v24, v6, vcc
	v_or3_b32 v7, 0, v2, v6
	v_add_u32_e32 v2, s12, v0
	v_or3_b32 v6, v1, 0, 0
	v_lshlrev_b64 v[0:1], 2, v[2:3]
	v_cmp_le_u64_e32 vcc, s[22:23], v[0:1]
	v_cmp_lt_u32_e64 s[8:9], s14, v2
	s_or_b64 s[8:9], s[8:9], vcc
	s_and_b64 s[8:9], exec, s[8:9]
	s_or_b64 s[10:11], s[8:9], s[10:11]
	v_pk_mov_b32 v[0:1], v[2:3], v[2:3] op_sel:[0,1]
	global_store_dwordx2 v[4:5], v[6:7], off
	s_andn2_b64 exec, exec, s[10:11]
	s_cbranch_execz .LBB3_76
.LBB3_66:                               ; =>This Inner Loop Header: Depth=1
	v_lshlrev_b64 v[4:5], 3, v[0:1]
	v_add_co_u32_e32 v6, vcc, s33, v4
	v_addc_co_u32_e32 v7, vcc, v17, v5, vcc
	v_add_co_u32_e32 v8, vcc, s34, v4
	v_addc_co_u32_e32 v9, vcc, v21, v5, vcc
	v_add_co_u32_e32 v4, vcc, s35, v4
	global_load_dwordx2 v[10:11], v[8:9], off
	v_addc_co_u32_e32 v5, vcc, v22, v5, vcc
	global_load_dwordx2 v[12:13], v[6:7], off
	global_load_dwordx2 v[14:15], v[4:5], off
	s_and_b64 vcc, exec, s[6:7]
	s_waitcnt vmcnt(2)
	v_lshlrev_b32_e32 v1, 16, v10
	s_cbranch_vccnz .LBB3_68
; %bb.67:                               ;   in Loop: Header=BB3_66 Depth=1
	global_load_dword v2, v3, s[20:21]
	v_and_b32_e32 v10, 0xffff0000, v10
	s_waitcnt vmcnt(0)
	v_div_scale_f32 v25, s[8:9], v2, v2, v1
	v_rcp_f32_e32 v26, v25
	v_div_scale_f32 v27, vcc, v1, v2, v1
	v_fma_f32 v28, -v25, v26, 1.0
	v_fmac_f32_e32 v26, v28, v26
	v_mul_f32_e32 v28, v27, v26
	v_fma_f32 v29, -v25, v28, v27
	v_fmac_f32_e32 v28, v29, v26
	v_fma_f32 v25, -v25, v28, v27
	v_div_fmas_f32 v25, v25, v26, v28
	v_div_fixup_f32 v1, v25, v2, v1
	v_bfe_u32 v2, v1, 16, 1
	v_add3_u32 v2, v1, v2, s13
	v_lshrrev_b32_e32 v2, 16, v2
	v_cmp_o_f32_e32 vcc, v1, v1
	v_cndmask_b32_e32 v2, v23, v2, vcc
	v_or_b32_e32 v10, v2, v10
.LBB3_68:                               ;   in Loop: Header=BB3_66 Depth=1
	s_and_b64 vcc, exec, s[6:7]
	v_and_b32_e32 v2, 0xffff0000, v10
	s_cbranch_vccnz .LBB3_70
; %bb.69:                               ;   in Loop: Header=BB3_66 Depth=1
	global_load_dword v25, v3, s[20:21]
	v_and_b32_e32 v10, 0xffff, v10
	s_waitcnt vmcnt(0)
	v_div_scale_f32 v26, s[8:9], v25, v25, v2
	v_rcp_f32_e32 v27, v26
	v_div_scale_f32 v28, vcc, v2, v25, v2
	v_fma_f32 v29, -v26, v27, 1.0
	v_fmac_f32_e32 v27, v29, v27
	v_mul_f32_e32 v29, v28, v27
	v_fma_f32 v30, -v26, v29, v28
	v_fmac_f32_e32 v29, v30, v27
	v_fma_f32 v26, -v26, v29, v28
	v_div_fmas_f32 v26, v26, v27, v29
	v_div_fixup_f32 v2, v26, v25, v2
	v_bfe_u32 v25, v2, 16, 1
	v_add3_u32 v25, v2, v25, s13
	v_and_b32_e32 v25, 0xffff0000, v25
	v_cmp_o_f32_e32 vcc, v2, v2
	v_cndmask_b32_e32 v25, v24, v25, vcc
	v_or_b32_e32 v10, v25, v10
.LBB3_70:                               ;   in Loop: Header=BB3_66 Depth=1
	v_alignbit_b32 v25, v11, v10, 16
	s_and_b64 vcc, exec, s[6:7]
	v_and_b32_e32 v25, 0xffff0000, v25
	s_cbranch_vccnz .LBB3_72
; %bb.71:                               ;   in Loop: Header=BB3_66 Depth=1
	global_load_dword v26, v3, s[20:21]
	v_and_b32_e32 v11, 0xffff0000, v11
	s_waitcnt vmcnt(0)
	v_div_scale_f32 v27, s[8:9], v26, v26, v25
	v_rcp_f32_e32 v28, v27
	v_div_scale_f32 v29, vcc, v25, v26, v25
	v_fma_f32 v30, -v27, v28, 1.0
	v_fmac_f32_e32 v28, v30, v28
	v_mul_f32_e32 v30, v29, v28
	v_fma_f32 v31, -v27, v30, v29
	v_fmac_f32_e32 v30, v31, v28
	v_fma_f32 v27, -v27, v30, v29
	v_div_fmas_f32 v27, v27, v28, v30
	v_div_fixup_f32 v25, v27, v26, v25
	v_bfe_u32 v26, v25, 16, 1
	v_add3_u32 v26, v25, v26, s13
	v_lshrrev_b32_e32 v26, 16, v26
	v_cmp_o_f32_e32 vcc, v25, v25
	v_cndmask_b32_e32 v26, v23, v26, vcc
	v_or_b32_e32 v11, v26, v11
.LBB3_72:                               ;   in Loop: Header=BB3_66 Depth=1
	s_and_b64 vcc, exec, s[6:7]
	v_and_b32_e32 v26, 0xffff0000, v11
	s_cbranch_vccnz .LBB3_74
; %bb.73:                               ;   in Loop: Header=BB3_66 Depth=1
	global_load_dword v27, v3, s[20:21]
	v_and_b32_e32 v11, 0xffff, v11
	s_waitcnt vmcnt(0)
	v_div_scale_f32 v28, s[8:9], v27, v27, v26
	v_rcp_f32_e32 v29, v28
	v_div_scale_f32 v30, vcc, v26, v27, v26
	v_fma_f32 v31, -v28, v29, 1.0
	v_fmac_f32_e32 v29, v31, v29
	v_mul_f32_e32 v31, v30, v29
	v_fma_f32 v32, -v28, v31, v30
	v_fmac_f32_e32 v31, v32, v29
	v_fma_f32 v28, -v28, v31, v30
	v_div_fmas_f32 v28, v28, v29, v31
	v_div_fixup_f32 v26, v28, v27, v26
	v_bfe_u32 v27, v26, 16, 1
	v_add3_u32 v27, v26, v27, s13
	v_and_b32_e32 v27, 0xffff0000, v27
	v_cmp_o_f32_e32 vcc, v26, v26
	v_cndmask_b32_e32 v27, v24, v27, vcc
	v_or_b32_e32 v11, v27, v11
.LBB3_74:                               ;   in Loop: Header=BB3_66 Depth=1
	s_waitcnt vmcnt(1)
	v_lshlrev_b32_e32 v27, 16, v12
	v_cndmask_b32_e64 v1, v1, -v1, s[18:19]
	v_fma_f32 v28, v19, v27, v1
	v_cndmask_b32_e64 v28, v1, v28, s[4:5]
	s_waitcnt vmcnt(0)
	v_lshlrev_b32_e32 v1, 16, v14
	v_mul_f32_e32 v29, v16, v28
	v_fmac_f32_e32 v29, v20, v1
	v_cndmask_b32_e64 v1, v29, v28, s[2:3]
	v_fmac_f32_e32 v28, v1, v20
	v_cndmask_b32_e64 v28, v1, v28, s[0:1]
	v_fma_f32 v27, -v18, v28, v27
	v_bfe_u32 v28, v27, 16, 1
	v_add3_u32 v28, v27, v28, s13
	v_lshrrev_b32_e32 v28, 16, v28
	v_cmp_o_f32_e32 vcc, v27, v27
	v_cndmask_b32_e32 v27, v23, v28, vcc
	v_and_b32_e32 v28, 0xffff0000, v12
	v_cndmask_b32_e64 v2, v2, -v2, s[18:19]
	v_fma_f32 v29, v19, v28, v2
	v_cndmask_b32_e64 v29, v2, v29, s[4:5]
	v_and_b32_e32 v2, 0xffff0000, v14
	v_mul_f32_e32 v30, v16, v29
	v_fmac_f32_e32 v30, v20, v2
	v_cndmask_b32_e64 v2, v30, v29, s[2:3]
	v_fmac_f32_e32 v29, v2, v20
	v_cndmask_b32_e64 v29, v2, v29, s[0:1]
	v_fma_f32 v28, -v18, v29, v28
	v_bfe_u32 v29, v28, 16, 1
	v_add3_u32 v29, v28, v29, s13
	v_and_b32_e32 v29, 0xffff0000, v29
	v_cmp_o_f32_e32 vcc, v28, v28
	v_cndmask_b32_e32 v28, v24, v29, vcc
	v_alignbit_b32 v12, v13, v12, 16
	v_or_b32_e32 v27, v28, v27
	v_and_b32_e32 v28, 0xffff0000, v12
	v_cndmask_b32_e64 v12, v25, -v25, s[18:19]
	v_fma_f32 v25, v19, v28, v12
	v_cndmask_b32_e64 v25, v12, v25, s[4:5]
	v_alignbit_b32 v12, v15, v14, 16
	v_and_b32_e32 v12, 0xffff0000, v12
	v_mul_f32_e32 v14, v16, v25
	v_fmac_f32_e32 v14, v20, v12
	v_cndmask_b32_e64 v12, v14, v25, s[2:3]
	v_fmac_f32_e32 v25, v12, v20
	v_cndmask_b32_e64 v14, v12, v25, s[0:1]
	v_fma_f32 v14, -v18, v14, v28
	v_bfe_u32 v25, v14, 16, 1
	v_add3_u32 v25, v14, v25, s13
	v_lshrrev_b32_e32 v25, 16, v25
	v_cmp_o_f32_e32 vcc, v14, v14
	v_cndmask_b32_e32 v14, v23, v25, vcc
	v_and_b32_e32 v25, 0xffff0000, v13
	v_cndmask_b32_e64 v13, v26, -v26, s[18:19]
	v_fma_f32 v26, v19, v25, v13
	v_cndmask_b32_e64 v26, v13, v26, s[4:5]
	v_and_b32_e32 v13, 0xffff0000, v15
	v_mul_f32_e32 v15, v16, v26
	v_fmac_f32_e32 v15, v20, v13
	v_cndmask_b32_e64 v13, v15, v26, s[2:3]
	v_fmac_f32_e32 v26, v13, v20
	v_cndmask_b32_e64 v15, v13, v26, s[0:1]
	v_fma_f32 v15, -v18, v15, v25
	v_bfe_u32 v25, v15, 16, 1
	v_add3_u32 v25, v15, v25, s13
	v_and_b32_e32 v25, 0xffff0000, v25
	v_cmp_o_f32_e32 vcc, v15, v15
	v_cndmask_b32_e32 v15, v24, v25, vcc
	v_or3_b32 v15, 0, v14, v15
	v_or3_b32 v14, v27, 0, 0
	s_and_b64 vcc, exec, s[6:7]
	global_store_dwordx2 v[6:7], v[14:15], off
	s_cbranch_vccnz .LBB3_65
; %bb.75:                               ;   in Loop: Header=BB3_66 Depth=1
	global_store_dwordx2 v[8:9], v[10:11], off
	s_branch .LBB3_65
.LBB3_76:
	s_endpgm
.LBB3_77:
                                        ; implicit-def: $sgpr12
	s_load_dword s6, s[0:1], 0x740
	v_mov_b32_e32 v18, s12
	s_branch .LBB3_5
	.section	.rodata,"a",@progbits
	.p2align	6, 0x0
	.amdhsa_kernel _ZN2at6native12_GLOBAL__N_125multi_tensor_apply_kernelINS1_18TensorListMetadataILi3EEENS1_19FusedSgdMathFunctorIN3c108BFloat16ELi3EEEJddPfddbbbS9_S9_EEEvT_T0_DpT1_
		.amdhsa_group_segment_fixed_size 0
		.amdhsa_private_segment_fixed_size 0
		.amdhsa_kernarg_size 3472
		.amdhsa_user_sgpr_count 6
		.amdhsa_user_sgpr_private_segment_buffer 1
		.amdhsa_user_sgpr_dispatch_ptr 0
		.amdhsa_user_sgpr_queue_ptr 0
		.amdhsa_user_sgpr_kernarg_segment_ptr 1
		.amdhsa_user_sgpr_dispatch_id 0
		.amdhsa_user_sgpr_flat_scratch_init 0
		.amdhsa_user_sgpr_kernarg_preload_length 0
		.amdhsa_user_sgpr_kernarg_preload_offset 0
		.amdhsa_user_sgpr_private_segment_size 0
		.amdhsa_uses_dynamic_stack 0
		.amdhsa_system_sgpr_private_segment_wavefront_offset 0
		.amdhsa_system_sgpr_workgroup_id_x 1
		.amdhsa_system_sgpr_workgroup_id_y 0
		.amdhsa_system_sgpr_workgroup_id_z 0
		.amdhsa_system_sgpr_workgroup_info 0
		.amdhsa_system_vgpr_workitem_id 0
		.amdhsa_next_free_vgpr 34
		.amdhsa_next_free_sgpr 46
		.amdhsa_accum_offset 36
		.amdhsa_reserve_vcc 1
		.amdhsa_reserve_flat_scratch 0
		.amdhsa_float_round_mode_32 0
		.amdhsa_float_round_mode_16_64 0
		.amdhsa_float_denorm_mode_32 3
		.amdhsa_float_denorm_mode_16_64 3
		.amdhsa_dx10_clamp 1
		.amdhsa_ieee_mode 1
		.amdhsa_fp16_overflow 0
		.amdhsa_tg_split 0
		.amdhsa_exception_fp_ieee_invalid_op 0
		.amdhsa_exception_fp_denorm_src 0
		.amdhsa_exception_fp_ieee_div_zero 0
		.amdhsa_exception_fp_ieee_overflow 0
		.amdhsa_exception_fp_ieee_underflow 0
		.amdhsa_exception_fp_ieee_inexact 0
		.amdhsa_exception_int_div_zero 0
	.end_amdhsa_kernel
	.section	.text._ZN2at6native12_GLOBAL__N_125multi_tensor_apply_kernelINS1_18TensorListMetadataILi3EEENS1_19FusedSgdMathFunctorIN3c108BFloat16ELi3EEEJddPfddbbbS9_S9_EEEvT_T0_DpT1_,"axG",@progbits,_ZN2at6native12_GLOBAL__N_125multi_tensor_apply_kernelINS1_18TensorListMetadataILi3EEENS1_19FusedSgdMathFunctorIN3c108BFloat16ELi3EEEJddPfddbbbS9_S9_EEEvT_T0_DpT1_,comdat
.Lfunc_end3:
	.size	_ZN2at6native12_GLOBAL__N_125multi_tensor_apply_kernelINS1_18TensorListMetadataILi3EEENS1_19FusedSgdMathFunctorIN3c108BFloat16ELi3EEEJddPfddbbbS9_S9_EEEvT_T0_DpT1_, .Lfunc_end3-_ZN2at6native12_GLOBAL__N_125multi_tensor_apply_kernelINS1_18TensorListMetadataILi3EEENS1_19FusedSgdMathFunctorIN3c108BFloat16ELi3EEEJddPfddbbbS9_S9_EEEvT_T0_DpT1_
                                        ; -- End function
	.section	.AMDGPU.csdata,"",@progbits
; Kernel info:
; codeLenInByte = 4348
; NumSgprs: 50
; NumVgprs: 34
; NumAgprs: 0
; TotalNumVgprs: 34
; ScratchSize: 0
; MemoryBound: 0
; FloatMode: 240
; IeeeMode: 1
; LDSByteSize: 0 bytes/workgroup (compile time only)
; SGPRBlocks: 6
; VGPRBlocks: 4
; NumSGPRsForWavesPerEU: 50
; NumVGPRsForWavesPerEU: 34
; AccumOffset: 36
; Occupancy: 8
; WaveLimiterHint : 0
; COMPUTE_PGM_RSRC2:SCRATCH_EN: 0
; COMPUTE_PGM_RSRC2:USER_SGPR: 6
; COMPUTE_PGM_RSRC2:TRAP_HANDLER: 0
; COMPUTE_PGM_RSRC2:TGID_X_EN: 1
; COMPUTE_PGM_RSRC2:TGID_Y_EN: 0
; COMPUTE_PGM_RSRC2:TGID_Z_EN: 0
; COMPUTE_PGM_RSRC2:TIDIG_COMP_CNT: 0
; COMPUTE_PGM_RSRC3_GFX90A:ACCUM_OFFSET: 8
; COMPUTE_PGM_RSRC3_GFX90A:TG_SPLIT: 0
	.section	.text._ZN2at6native12_GLOBAL__N_125multi_tensor_apply_kernelINS1_18TensorListMetadataILi2EEENS1_19FusedSgdMathFunctorIdLi2EEEJddPfddbbbS7_S7_EEEvT_T0_DpT1_,"axG",@progbits,_ZN2at6native12_GLOBAL__N_125multi_tensor_apply_kernelINS1_18TensorListMetadataILi2EEENS1_19FusedSgdMathFunctorIdLi2EEEJddPfddbbbS7_S7_EEEvT_T0_DpT1_,comdat
	.globl	_ZN2at6native12_GLOBAL__N_125multi_tensor_apply_kernelINS1_18TensorListMetadataILi2EEENS1_19FusedSgdMathFunctorIdLi2EEEJddPfddbbbS7_S7_EEEvT_T0_DpT1_ ; -- Begin function _ZN2at6native12_GLOBAL__N_125multi_tensor_apply_kernelINS1_18TensorListMetadataILi2EEENS1_19FusedSgdMathFunctorIdLi2EEEJddPfddbbbS7_S7_EEEvT_T0_DpT1_
	.p2align	8
	.type	_ZN2at6native12_GLOBAL__N_125multi_tensor_apply_kernelINS1_18TensorListMetadataILi2EEENS1_19FusedSgdMathFunctorIdLi2EEEJddPfddbbbS7_S7_EEEvT_T0_DpT1_,@function
_ZN2at6native12_GLOBAL__N_125multi_tensor_apply_kernelINS1_18TensorListMetadataILi2EEENS1_19FusedSgdMathFunctorIdLi2EEEJddPfddbbbS7_S7_EEEvT_T0_DpT1_: ; @_ZN2at6native12_GLOBAL__N_125multi_tensor_apply_kernelINS1_18TensorListMetadataILi2EEENS1_19FusedSgdMathFunctorIdLi2EEEJddPfddbbbS7_S7_EEEvT_T0_DpT1_
; %bb.0:
	s_load_dwordx4 s[16:19], s[4:5], 0xc80
	s_waitcnt lgkmcnt(0)
	s_cmp_eq_u64 s[18:19], 0
	s_cselect_b64 s[0:1], -1, 0
	s_and_b64 vcc, exec, s[0:1]
	s_cbranch_vccnz .LBB4_2
; %bb.1:
	s_load_dword s0, s[18:19], 0x0
	s_waitcnt lgkmcnt(0)
	v_cmp_neq_f32_e64 s[0:1], s0, 1.0
.LBB4_2:
	s_andn2_b64 vcc, exec, s[0:1]
	s_cbranch_vccnz .LBB4_66
; %bb.3:
	v_mov_b32_e32 v1, s6
	global_load_ubyte v1, v1, s[4:5] offset:1536
	s_load_dwordx4 s[0:3], s[4:5], 0xc60
	s_add_u32 s7, s4, s6
	s_mul_hi_u32 s8, s6, 3
	s_mul_i32 s6, s6, 3
	s_addc_u32 s9, s5, 0
	s_add_u32 s6, s7, s6
	s_addc_u32 s7, s9, s8
	s_load_dword s8, s[6:7], 0x740
	s_mov_b32 s7, 0
	s_waitcnt lgkmcnt(0)
	s_cmp_eq_u64 s[0:1], 0
	v_pk_mov_b32 v[22:23], s[2:3], s[2:3] op_sel:[0,1]
	s_waitcnt vmcnt(0)
	v_readfirstlane_b32 s6, v1
	s_cbranch_scc1 .LBB4_5
; %bb.4:
	s_load_dword s0, s[0:1], 0x0
	s_waitcnt lgkmcnt(0)
	v_cvt_f64_f32_e32 v[22:23], s0
.LBB4_5:
	s_load_dword s0, s[4:5], 0xc78
	s_waitcnt lgkmcnt(0)
	s_bitcmp1_b32 s0, 8
	s_cselect_b64 s[0:1], -1, 0
	s_and_b32 s2, s6, 0xff
	s_lshl_b32 s6, s2, 3
	s_load_dwordx2 s[18:19], s[4:5], 0xc50
	s_load_dwordx2 s[2:3], s[4:5], s6 offset:0x400
	s_ashr_i32 s9, s8, 31
	s_load_dwordx2 s[12:13], s[4:5], s6 offset:0x0
	s_load_dwordx2 s[14:15], s[4:5], s6 offset:0x200
	s_lshl_b64 s[10:11], s[8:9], 16
	s_waitcnt lgkmcnt(0)
	s_sub_u32 s20, s2, s10
	s_subb_u32 s21, s3, s11
	s_lshl_b64 s[8:9], s[8:9], 19
	s_add_u32 s30, s12, s8
	s_addc_u32 s33, s13, s9
	s_and_b32 s6, s30, 31
	s_add_u32 s31, s14, s8
	s_addc_u32 s34, s15, s9
	s_and_b32 s8, s31, 31
	s_mov_b32 s9, s7
	s_and_b32 s2, s2, 3
	s_mov_b32 s3, s7
	s_or_b64 s[2:3], s[2:3], s[8:9]
	s_or_b64 s[2:3], s[2:3], s[6:7]
	s_cmp_eq_u64 s[2:3], 0
	s_mov_b64 s[2:3], -1
	s_cbranch_scc1 .LBB4_52
; %bb.6:
	v_cmp_lt_i64_e64 s[2:3], s[20:21], 1
	s_and_b64 vcc, exec, s[2:3]
	s_cbranch_vccnz .LBB4_51
; %bb.7:
	s_load_dword s6, s[4:5], 0xc9c
	v_mov_b32_e32 v2, 0x10000
	v_mov_b32_e32 v3, 0
	v_cmp_lt_i64_e32 vcc, s[20:21], v[2:3]
	s_and_b64 s[2:3], vcc, exec
	s_cselect_b32 s23, s21, 0
	s_cselect_b32 s22, s20, 0x10000
	s_waitcnt lgkmcnt(0)
	s_and_b32 s35, s6, 0xffff
	s_lshl_b32 s36, s35, 1
	s_cmp_lg_u64 s[16:17], 0
	s_mul_i32 s37, s35, 3
	s_mov_b64 s[24:25], 0
	s_cselect_b64 s[26:27], -1, 0
	v_cmp_neq_f64_e64 s[2:3], s[18:19], 0
	s_lshl_b32 s38, s35, 2
	v_mov_b32_e32 v1, s7
	v_mov_b32_e32 v28, s7
	;; [unrolled: 1-line block ×3, first 2 shown]
	s_branch .LBB4_10
.LBB4_8:                                ;   in Loop: Header=BB4_10 Depth=1
	s_or_b64 exec, exec, s[6:7]
.LBB4_9:                                ;   in Loop: Header=BB4_10 Depth=1
	s_add_i32 s24, s24, s38
	s_ashr_i32 s25, s24, 31
	v_pk_mov_b32 v[2:3], s[22:23], s[22:23] op_sel:[0,1]
	v_cmp_lt_i64_e32 vcc, s[24:25], v[2:3]
	s_cbranch_vccz .LBB4_51
.LBB4_10:                               ; =>This Inner Loop Header: Depth=1
	v_mov_b32_e32 v3, s25
	v_add_co_u32_e32 v2, vcc, s24, v0
	v_addc_co_u32_e32 v3, vcc, 0, v3, vcc
	s_waitcnt vmcnt(0)
	v_pk_mov_b32 v[4:5], 0, 0
	v_cmp_gt_i64_e64 s[6:7], s[22:23], v[2:3]
	v_pk_mov_b32 v[18:19], v[4:5], v[4:5] op_sel:[0,1]
	s_and_saveexec_b64 s[8:9], s[6:7]
	s_cbranch_execz .LBB4_12
; %bb.11:                               ;   in Loop: Header=BB4_10 Depth=1
	v_lshlrev_b64 v[6:7], 3, v[2:3]
	v_mov_b32_e32 v8, s33
	v_add_co_u32_e32 v6, vcc, s30, v6
	v_addc_co_u32_e32 v7, vcc, v8, v7, vcc
	global_load_dwordx2 v[18:19], v[6:7], off
.LBB4_12:                               ;   in Loop: Header=BB4_10 Depth=1
	s_or_b64 exec, exec, s[8:9]
	s_and_saveexec_b64 s[8:9], s[6:7]
	s_cbranch_execz .LBB4_14
; %bb.13:                               ;   in Loop: Header=BB4_10 Depth=1
	v_lshlrev_b64 v[4:5], 3, v[2:3]
	v_mov_b32_e32 v6, s34
	v_add_co_u32_e32 v4, vcc, s31, v4
	v_addc_co_u32_e32 v5, vcc, v6, v5, vcc
	global_load_dwordx2 v[4:5], v[4:5], off
.LBB4_14:                               ;   in Loop: Header=BB4_10 Depth=1
	s_or_b64 exec, exec, s[8:9]
	v_add_co_u32_e32 v6, vcc, s35, v2
	v_addc_co_u32_e32 v7, vcc, v3, v1, vcc
	v_pk_mov_b32 v[8:9], 0, 0
	v_cmp_gt_i64_e64 s[8:9], s[22:23], v[6:7]
	v_pk_mov_b32 v[20:21], v[8:9], v[8:9] op_sel:[0,1]
	s_and_saveexec_b64 s[10:11], s[8:9]
	s_cbranch_execz .LBB4_16
; %bb.15:                               ;   in Loop: Header=BB4_10 Depth=1
	v_lshlrev_b64 v[10:11], 3, v[6:7]
	v_mov_b32_e32 v12, s33
	v_add_co_u32_e32 v10, vcc, s30, v10
	v_addc_co_u32_e32 v11, vcc, v12, v11, vcc
	global_load_dwordx2 v[20:21], v[10:11], off
.LBB4_16:                               ;   in Loop: Header=BB4_10 Depth=1
	s_or_b64 exec, exec, s[10:11]
	s_and_saveexec_b64 s[10:11], s[8:9]
	s_cbranch_execz .LBB4_18
; %bb.17:                               ;   in Loop: Header=BB4_10 Depth=1
	v_lshlrev_b64 v[8:9], 3, v[6:7]
	v_mov_b32_e32 v10, s34
	v_add_co_u32_e32 v8, vcc, s31, v8
	v_addc_co_u32_e32 v9, vcc, v10, v9, vcc
	global_load_dwordx2 v[8:9], v[8:9], off
.LBB4_18:                               ;   in Loop: Header=BB4_10 Depth=1
	s_or_b64 exec, exec, s[10:11]
	v_add_co_u32_e32 v10, vcc, s36, v2
	v_addc_co_u32_e32 v11, vcc, v3, v28, vcc
	;; [unrolled: 25-line block ×3, first 2 shown]
	v_pk_mov_b32 v[16:17], 0, 0
	v_cmp_gt_i64_e64 s[12:13], s[22:23], v[14:15]
	v_pk_mov_b32 v[26:27], v[16:17], v[16:17] op_sel:[0,1]
	s_and_saveexec_b64 s[14:15], s[12:13]
	s_cbranch_execz .LBB4_24
; %bb.23:                               ;   in Loop: Header=BB4_10 Depth=1
	v_lshlrev_b64 v[26:27], 3, v[14:15]
	v_mov_b32_e32 v30, s33
	v_add_co_u32_e32 v26, vcc, s30, v26
	v_addc_co_u32_e32 v27, vcc, v30, v27, vcc
	global_load_dwordx2 v[26:27], v[26:27], off
.LBB4_24:                               ;   in Loop: Header=BB4_10 Depth=1
	s_or_b64 exec, exec, s[14:15]
	s_and_saveexec_b64 s[14:15], s[12:13]
	s_cbranch_execz .LBB4_26
; %bb.25:                               ;   in Loop: Header=BB4_10 Depth=1
	v_lshlrev_b64 v[16:17], 3, v[14:15]
	v_mov_b32_e32 v30, s34
	v_add_co_u32_e32 v16, vcc, s31, v16
	v_addc_co_u32_e32 v17, vcc, v30, v17, vcc
	global_load_dwordx2 v[16:17], v[16:17], off
.LBB4_26:                               ;   in Loop: Header=BB4_10 Depth=1
	s_or_b64 exec, exec, s[14:15]
	v_cndmask_b32_e64 v30, 0, 1, s[26:27]
	v_cmp_ne_u32_e64 s[14:15], 1, v30
	s_andn2_b64 vcc, exec, s[26:27]
	s_cbranch_vccnz .LBB4_28
; %bb.27:                               ;   in Loop: Header=BB4_10 Depth=1
	s_load_dword s25, s[16:17], 0x0
	s_waitcnt lgkmcnt(0)
	v_cvt_f64_f32_e32 v[30:31], s25
	s_waitcnt vmcnt(0)
	v_div_scale_f64 v[32:33], s[28:29], v[30:31], v[30:31], v[4:5]
	v_rcp_f64_e32 v[34:35], v[32:33]
	v_div_scale_f64 v[36:37], vcc, v[4:5], v[30:31], v[4:5]
	v_fma_f64 v[38:39], -v[32:33], v[34:35], 1.0
	v_fmac_f64_e32 v[34:35], v[34:35], v[38:39]
	v_fma_f64 v[38:39], -v[32:33], v[34:35], 1.0
	v_fmac_f64_e32 v[34:35], v[34:35], v[38:39]
	v_mul_f64 v[38:39], v[36:37], v[34:35]
	v_fma_f64 v[32:33], -v[32:33], v[38:39], v[36:37]
	v_div_fmas_f64 v[32:33], v[32:33], v[34:35], v[38:39]
	v_div_fixup_f64 v[4:5], v[32:33], v[30:31], v[4:5]
.LBB4_28:                               ;   in Loop: Header=BB4_10 Depth=1
	s_and_b64 vcc, exec, s[14:15]
	s_cbranch_vccnz .LBB4_30
; %bb.29:                               ;   in Loop: Header=BB4_10 Depth=1
	s_load_dword s25, s[16:17], 0x0
	s_waitcnt lgkmcnt(0)
	v_cvt_f64_f32_e32 v[30:31], s25
	s_waitcnt vmcnt(0)
	v_div_scale_f64 v[32:33], s[28:29], v[30:31], v[30:31], v[8:9]
	v_rcp_f64_e32 v[34:35], v[32:33]
	v_div_scale_f64 v[36:37], vcc, v[8:9], v[30:31], v[8:9]
	v_fma_f64 v[38:39], -v[32:33], v[34:35], 1.0
	v_fmac_f64_e32 v[34:35], v[34:35], v[38:39]
	v_fma_f64 v[38:39], -v[32:33], v[34:35], 1.0
	v_fmac_f64_e32 v[34:35], v[34:35], v[38:39]
	v_mul_f64 v[38:39], v[36:37], v[34:35]
	v_fma_f64 v[32:33], -v[32:33], v[38:39], v[36:37]
	v_div_fmas_f64 v[32:33], v[32:33], v[34:35], v[38:39]
	v_div_fixup_f64 v[8:9], v[32:33], v[30:31], v[8:9]
.LBB4_30:                               ;   in Loop: Header=BB4_10 Depth=1
	s_and_b64 vcc, exec, s[14:15]
	;; [unrolled: 19-line block ×3, first 2 shown]
	s_cbranch_vccnz .LBB4_34
; %bb.33:                               ;   in Loop: Header=BB4_10 Depth=1
	s_load_dword s25, s[16:17], 0x0
	s_waitcnt lgkmcnt(0)
	v_cvt_f64_f32_e32 v[30:31], s25
	s_waitcnt vmcnt(0)
	v_div_scale_f64 v[32:33], s[28:29], v[30:31], v[30:31], v[16:17]
	v_rcp_f64_e32 v[34:35], v[32:33]
	v_div_scale_f64 v[36:37], vcc, v[16:17], v[30:31], v[16:17]
	v_fma_f64 v[38:39], -v[32:33], v[34:35], 1.0
	v_fmac_f64_e32 v[34:35], v[34:35], v[38:39]
	v_fma_f64 v[38:39], -v[32:33], v[34:35], 1.0
	v_fmac_f64_e32 v[34:35], v[34:35], v[38:39]
	v_mul_f64 v[38:39], v[36:37], v[34:35]
	v_fma_f64 v[32:33], -v[32:33], v[38:39], v[36:37]
	v_div_fmas_f64 v[32:33], v[32:33], v[34:35], v[38:39]
	v_div_fixup_f64 v[16:17], v[32:33], v[30:31], v[16:17]
.LBB4_34:                               ;   in Loop: Header=BB4_10 Depth=1
	s_and_saveexec_b64 s[28:29], s[6:7]
	s_cbranch_execnz .LBB4_39
; %bb.35:                               ;   in Loop: Header=BB4_10 Depth=1
	s_or_b64 exec, exec, s[28:29]
	s_and_saveexec_b64 s[28:29], s[8:9]
	s_cbranch_execnz .LBB4_40
.LBB4_36:                               ;   in Loop: Header=BB4_10 Depth=1
	s_or_b64 exec, exec, s[28:29]
	s_and_saveexec_b64 s[28:29], s[10:11]
	s_cbranch_execnz .LBB4_41
.LBB4_37:                               ;   in Loop: Header=BB4_10 Depth=1
	s_or_b64 exec, exec, s[28:29]
	s_and_saveexec_b64 s[28:29], s[12:13]
	s_cbranch_execnz .LBB4_42
.LBB4_38:                               ;   in Loop: Header=BB4_10 Depth=1
	s_or_b64 exec, exec, s[28:29]
	s_and_b64 vcc, exec, s[14:15]
	s_cbranch_vccz .LBB4_43
	s_branch .LBB4_9
.LBB4_39:                               ;   in Loop: Header=BB4_10 Depth=1
	s_waitcnt vmcnt(0)
	v_xor_b32_e32 v30, 0x80000000, v5
	v_cndmask_b32_e64 v31, v5, v30, s[0:1]
	v_cndmask_b32_e64 v30, v4, v4, s[0:1]
	v_pk_mov_b32 v[32:33], v[30:31], v[30:31] op_sel:[0,1]
	v_fmac_f64_e32 v[32:33], s[18:19], v[18:19]
	v_cndmask_b32_e64 v31, v31, v33, s[2:3]
	v_cndmask_b32_e64 v30, v30, v32, s[2:3]
	v_fma_f64 v[18:19], -v[22:23], v[30:31], v[18:19]
	v_lshlrev_b64 v[30:31], 3, v[2:3]
	v_mov_b32_e32 v32, s33
	v_add_co_u32_e32 v30, vcc, s30, v30
	v_addc_co_u32_e32 v31, vcc, v32, v31, vcc
	global_store_dwordx2 v[30:31], v[18:19], off
	s_or_b64 exec, exec, s[28:29]
	s_and_saveexec_b64 s[28:29], s[8:9]
	s_cbranch_execz .LBB4_36
.LBB4_40:                               ;   in Loop: Header=BB4_10 Depth=1
	s_waitcnt vmcnt(0)
	v_xor_b32_e32 v18, 0x80000000, v9
	v_cndmask_b32_e64 v19, v9, v18, s[0:1]
	v_cndmask_b32_e64 v18, v8, v8, s[0:1]
	v_pk_mov_b32 v[30:31], v[18:19], v[18:19] op_sel:[0,1]
	v_fmac_f64_e32 v[30:31], s[18:19], v[20:21]
	v_cndmask_b32_e64 v19, v19, v31, s[2:3]
	v_cndmask_b32_e64 v18, v18, v30, s[2:3]
	v_fma_f64 v[18:19], -v[22:23], v[18:19], v[20:21]
	v_lshlrev_b64 v[20:21], 3, v[6:7]
	v_mov_b32_e32 v30, s33
	v_add_co_u32_e32 v20, vcc, s30, v20
	v_addc_co_u32_e32 v21, vcc, v30, v21, vcc
	global_store_dwordx2 v[20:21], v[18:19], off
	s_or_b64 exec, exec, s[28:29]
	s_and_saveexec_b64 s[28:29], s[10:11]
	s_cbranch_execz .LBB4_37
.LBB4_41:                               ;   in Loop: Header=BB4_10 Depth=1
	s_waitcnt vmcnt(0)
	v_xor_b32_e32 v18, 0x80000000, v13
	v_cndmask_b32_e64 v19, v13, v18, s[0:1]
	v_cndmask_b32_e64 v18, v12, v12, s[0:1]
	v_pk_mov_b32 v[20:21], v[18:19], v[18:19] op_sel:[0,1]
	v_fmac_f64_e32 v[20:21], s[18:19], v[24:25]
	v_cndmask_b32_e64 v19, v19, v21, s[2:3]
	v_cndmask_b32_e64 v18, v18, v20, s[2:3]
	v_lshlrev_b64 v[20:21], 3, v[10:11]
	v_fma_f64 v[18:19], -v[22:23], v[18:19], v[24:25]
	v_mov_b32_e32 v24, s33
	v_add_co_u32_e32 v20, vcc, s30, v20
	v_addc_co_u32_e32 v21, vcc, v24, v21, vcc
	global_store_dwordx2 v[20:21], v[18:19], off
	s_or_b64 exec, exec, s[28:29]
	s_and_saveexec_b64 s[28:29], s[12:13]
	s_cbranch_execz .LBB4_38
.LBB4_42:                               ;   in Loop: Header=BB4_10 Depth=1
	s_waitcnt vmcnt(0)
	v_xor_b32_e32 v18, 0x80000000, v17
	v_cndmask_b32_e64 v19, v17, v18, s[0:1]
	v_cndmask_b32_e64 v18, v16, v16, s[0:1]
	v_pk_mov_b32 v[20:21], v[18:19], v[18:19] op_sel:[0,1]
	v_fmac_f64_e32 v[20:21], s[18:19], v[26:27]
	v_cndmask_b32_e64 v19, v19, v21, s[2:3]
	v_cndmask_b32_e64 v18, v18, v20, s[2:3]
	v_lshlrev_b64 v[20:21], 3, v[14:15]
	v_mov_b32_e32 v24, s33
	v_add_co_u32_e32 v20, vcc, s30, v20
	v_fma_f64 v[18:19], -v[22:23], v[18:19], v[26:27]
	v_addc_co_u32_e32 v21, vcc, v24, v21, vcc
	global_store_dwordx2 v[20:21], v[18:19], off
	s_or_b64 exec, exec, s[28:29]
	s_and_b64 vcc, exec, s[14:15]
	s_cbranch_vccnz .LBB4_9
.LBB4_43:                               ;   in Loop: Header=BB4_10 Depth=1
	s_and_saveexec_b64 s[14:15], s[6:7]
	s_cbranch_execnz .LBB4_47
; %bb.44:                               ;   in Loop: Header=BB4_10 Depth=1
	s_or_b64 exec, exec, s[14:15]
	s_and_saveexec_b64 s[6:7], s[8:9]
	s_cbranch_execnz .LBB4_48
.LBB4_45:                               ;   in Loop: Header=BB4_10 Depth=1
	s_or_b64 exec, exec, s[6:7]
	s_and_saveexec_b64 s[6:7], s[10:11]
	s_cbranch_execnz .LBB4_49
.LBB4_46:                               ;   in Loop: Header=BB4_10 Depth=1
	s_or_b64 exec, exec, s[6:7]
	s_and_saveexec_b64 s[6:7], s[12:13]
	s_cbranch_execz .LBB4_8
	s_branch .LBB4_50
.LBB4_47:                               ;   in Loop: Header=BB4_10 Depth=1
	v_lshlrev_b64 v[2:3], 3, v[2:3]
	s_waitcnt vmcnt(0)
	v_mov_b32_e32 v18, s34
	v_add_co_u32_e32 v2, vcc, s31, v2
	v_addc_co_u32_e32 v3, vcc, v18, v3, vcc
	global_store_dwordx2 v[2:3], v[4:5], off
	s_or_b64 exec, exec, s[14:15]
	s_and_saveexec_b64 s[6:7], s[8:9]
	s_cbranch_execz .LBB4_45
.LBB4_48:                               ;   in Loop: Header=BB4_10 Depth=1
	v_lshlrev_b64 v[2:3], 3, v[6:7]
	s_waitcnt vmcnt(0)
	v_mov_b32_e32 v4, s34
	v_add_co_u32_e32 v2, vcc, s31, v2
	v_addc_co_u32_e32 v3, vcc, v4, v3, vcc
	global_store_dwordx2 v[2:3], v[8:9], off
	s_or_b64 exec, exec, s[6:7]
	s_and_saveexec_b64 s[6:7], s[10:11]
	s_cbranch_execz .LBB4_46
.LBB4_49:                               ;   in Loop: Header=BB4_10 Depth=1
	v_lshlrev_b64 v[2:3], 3, v[10:11]
	s_waitcnt vmcnt(0)
	v_mov_b32_e32 v4, s34
	v_add_co_u32_e32 v2, vcc, s31, v2
	v_addc_co_u32_e32 v3, vcc, v4, v3, vcc
	global_store_dwordx2 v[2:3], v[12:13], off
	s_or_b64 exec, exec, s[6:7]
	s_and_saveexec_b64 s[6:7], s[12:13]
	s_cbranch_execz .LBB4_8
.LBB4_50:                               ;   in Loop: Header=BB4_10 Depth=1
	v_lshlrev_b64 v[2:3], 3, v[14:15]
	s_waitcnt vmcnt(0)
	v_mov_b32_e32 v4, s34
	v_add_co_u32_e32 v2, vcc, s31, v2
	v_addc_co_u32_e32 v3, vcc, v4, v3, vcc
	global_store_dwordx2 v[2:3], v[16:17], off
	s_branch .LBB4_8
.LBB4_51:
	s_mov_b64 s[2:3], 0
.LBB4_52:
	s_andn2_b64 vcc, exec, s[2:3]
	s_cbranch_vccnz .LBB4_66
; %bb.53:
	s_waitcnt vmcnt(0)
	v_mov_b32_e32 v25, 0
	v_lshlrev_b32_e32 v24, 2, v0
	v_cmp_gt_i64_e32 vcc, s[20:21], v[24:25]
	s_and_saveexec_b64 s[2:3], vcc
	s_cbranch_execz .LBB4_66
; %bb.54:
	s_load_dword s6, s[4:5], 0xc9c
	s_cmp_lg_u64 s[16:17], 0
	s_cselect_b64 s[4:5], -1, 0
	v_cndmask_b32_e64 v2, 0, 1, s[4:5]
	v_mov_b32_e32 v1, v25
	s_mov_b64 s[8:9], 0
	v_cmp_neq_f64_e64 s[2:3], s[18:19], 0
	s_waitcnt lgkmcnt(0)
	s_and_b32 s10, s6, 0xffff
	v_mov_b32_e32 v30, s33
	v_mov_b32_e32 v31, s34
	v_cmp_ne_u32_e64 s[4:5], 1, v2
	s_movk_i32 s11, 0x3fff
	s_branch .LBB4_56
.LBB4_55:                               ;   in Loop: Header=BB4_56 Depth=1
	v_add_u32_e32 v24, s10, v0
	v_lshlrev_b64 v[0:1], 2, v[24:25]
	v_cmp_le_u64_e32 vcc, s[20:21], v[0:1]
	v_cmp_lt_u32_e64 s[6:7], s11, v24
	s_or_b64 s[6:7], s[6:7], vcc
	s_and_b64 s[6:7], exec, s[6:7]
	s_or_b64 s[8:9], s[6:7], s[8:9]
	v_pk_mov_b32 v[0:1], v[24:25], v[24:25] op_sel:[0,1]
	s_andn2_b64 exec, exec, s[8:9]
	s_cbranch_execz .LBB4_66
.LBB4_56:                               ; =>This Inner Loop Header: Depth=1
	v_lshlrev_b64 v[6:7], 5, v[0:1]
	v_add_co_u32_e32 v26, vcc, s30, v6
	v_addc_co_u32_e32 v27, vcc, v30, v7, vcc
	v_add_co_u32_e32 v28, vcc, s31, v6
	v_addc_co_u32_e32 v29, vcc, v31, v7, vcc
	global_load_dwordx4 v[2:5], v[26:27], off offset:16
	global_load_dwordx4 v[14:17], v[26:27], off
	global_load_dwordx4 v[6:9], v[28:29], off offset:16
	global_load_dwordx4 v[10:13], v[28:29], off
	s_and_b64 vcc, exec, s[4:5]
	s_cbranch_vccnz .LBB4_58
; %bb.57:                               ;   in Loop: Header=BB4_56 Depth=1
	global_load_dword v1, v25, s[16:17]
	s_waitcnt vmcnt(0)
	v_cvt_f64_f32_e32 v[18:19], v1
	v_div_scale_f64 v[20:21], s[6:7], v[18:19], v[18:19], v[10:11]
	v_rcp_f64_e32 v[32:33], v[20:21]
	v_div_scale_f64 v[34:35], vcc, v[10:11], v[18:19], v[10:11]
	v_fma_f64 v[36:37], -v[20:21], v[32:33], 1.0
	v_fmac_f64_e32 v[32:33], v[32:33], v[36:37]
	v_fma_f64 v[36:37], -v[20:21], v[32:33], 1.0
	v_fmac_f64_e32 v[32:33], v[32:33], v[36:37]
	v_mul_f64 v[36:37], v[34:35], v[32:33]
	v_fma_f64 v[20:21], -v[20:21], v[36:37], v[34:35]
	v_div_fmas_f64 v[20:21], v[20:21], v[32:33], v[36:37]
	v_div_fixup_f64 v[10:11], v[20:21], v[18:19], v[10:11]
.LBB4_58:                               ;   in Loop: Header=BB4_56 Depth=1
	s_and_b64 vcc, exec, s[4:5]
	s_cbranch_vccnz .LBB4_60
; %bb.59:                               ;   in Loop: Header=BB4_56 Depth=1
	global_load_dword v1, v25, s[16:17]
	s_waitcnt vmcnt(0)
	v_cvt_f64_f32_e32 v[18:19], v1
	v_div_scale_f64 v[20:21], s[6:7], v[18:19], v[18:19], v[12:13]
	v_rcp_f64_e32 v[32:33], v[20:21]
	v_div_scale_f64 v[34:35], vcc, v[12:13], v[18:19], v[12:13]
	v_fma_f64 v[36:37], -v[20:21], v[32:33], 1.0
	v_fmac_f64_e32 v[32:33], v[32:33], v[36:37]
	v_fma_f64 v[36:37], -v[20:21], v[32:33], 1.0
	v_fmac_f64_e32 v[32:33], v[32:33], v[36:37]
	v_mul_f64 v[36:37], v[34:35], v[32:33]
	v_fma_f64 v[20:21], -v[20:21], v[36:37], v[34:35]
	v_div_fmas_f64 v[20:21], v[20:21], v[32:33], v[36:37]
	v_div_fixup_f64 v[12:13], v[20:21], v[18:19], v[12:13]
.LBB4_60:                               ;   in Loop: Header=BB4_56 Depth=1
	;; [unrolled: 18-line block ×3, first 2 shown]
	s_waitcnt vmcnt(0)
	v_xor_b32_e32 v1, 0x80000000, v13
	v_cndmask_b32_e64 v19, v13, v1, s[0:1]
	v_cndmask_b32_e64 v18, v12, v12, s[0:1]
	v_pk_mov_b32 v[20:21], v[18:19], v[18:19] op_sel:[0,1]
	v_fmac_f64_e32 v[20:21], s[18:19], v[16:17]
	v_cndmask_b32_e64 v19, v19, v21, s[2:3]
	v_cndmask_b32_e64 v18, v18, v20, s[2:3]
	v_xor_b32_e32 v1, 0x80000000, v11
	v_fma_f64 v[16:17], -v[22:23], v[18:19], v[16:17]
	v_cndmask_b32_e64 v19, v11, v1, s[0:1]
	v_cndmask_b32_e64 v18, v10, v10, s[0:1]
	v_pk_mov_b32 v[20:21], v[18:19], v[18:19] op_sel:[0,1]
	v_fmac_f64_e32 v[20:21], s[18:19], v[14:15]
	v_cndmask_b32_e64 v19, v19, v21, s[2:3]
	v_cndmask_b32_e64 v18, v18, v20, s[2:3]
	v_xor_b32_e32 v1, 0x80000000, v7
	v_fma_f64 v[14:15], -v[22:23], v[18:19], v[14:15]
	v_cndmask_b32_e64 v19, v7, v1, s[0:1]
	v_cndmask_b32_e64 v18, v6, v6, s[0:1]
	v_pk_mov_b32 v[20:21], v[18:19], v[18:19] op_sel:[0,1]
	v_fmac_f64_e32 v[20:21], s[18:19], v[2:3]
	v_cndmask_b32_e64 v19, v19, v21, s[2:3]
	v_cndmask_b32_e64 v18, v18, v20, s[2:3]
	s_and_b64 vcc, exec, s[4:5]
	v_fma_f64 v[18:19], -v[22:23], v[18:19], v[2:3]
	s_cbranch_vccnz .LBB4_64
; %bb.63:                               ;   in Loop: Header=BB4_56 Depth=1
	global_load_dword v1, v25, s[16:17]
	v_mov_b32_e32 v32, v6
	v_mov_b32_e32 v33, v7
	global_store_dwordx4 v[26:27], v[14:17], off
	s_waitcnt vmcnt(1)
	v_cvt_f64_f32_e32 v[2:3], v1
	v_div_scale_f64 v[20:21], s[6:7], v[2:3], v[2:3], v[8:9]
	v_rcp_f64_e32 v[34:35], v[20:21]
	v_div_scale_f64 v[6:7], vcc, v[8:9], v[2:3], v[8:9]
	v_fma_f64 v[36:37], -v[20:21], v[34:35], 1.0
	v_fmac_f64_e32 v[34:35], v[34:35], v[36:37]
	v_fma_f64 v[36:37], -v[20:21], v[34:35], 1.0
	v_fmac_f64_e32 v[34:35], v[34:35], v[36:37]
	v_mul_f64 v[36:37], v[6:7], v[34:35]
	v_fma_f64 v[6:7], -v[20:21], v[36:37], v[6:7]
	v_div_fmas_f64 v[6:7], v[6:7], v[34:35], v[36:37]
	v_div_fixup_f64 v[34:35], v[6:7], v[2:3], v[8:9]
	v_xor_b32_e32 v1, 0x80000000, v35
	v_cndmask_b32_e64 v2, v34, v34, s[0:1]
	v_cndmask_b32_e64 v3, v35, v1, s[0:1]
	v_pk_mov_b32 v[6:7], v[2:3], v[2:3] op_sel:[0,1]
	v_fmac_f64_e32 v[6:7], s[18:19], v[4:5]
	v_cndmask_b32_e64 v3, v3, v7, s[2:3]
	v_cndmask_b32_e64 v2, v2, v6, s[2:3]
	v_fma_f64 v[20:21], -v[22:23], v[2:3], v[4:5]
	global_store_dwordx4 v[26:27], v[18:21], off offset:16
	global_store_dwordx4 v[28:29], v[10:13], off
	global_store_dwordx4 v[28:29], v[32:35], off offset:16
	s_cbranch_execnz .LBB4_55
	s_branch .LBB4_65
.LBB4_64:                               ;   in Loop: Header=BB4_56 Depth=1
.LBB4_65:                               ;   in Loop: Header=BB4_56 Depth=1
	v_xor_b32_e32 v1, 0x80000000, v9
	v_cndmask_b32_e64 v3, v9, v1, s[0:1]
	v_cndmask_b32_e64 v2, v8, v8, s[0:1]
	v_pk_mov_b32 v[6:7], v[2:3], v[2:3] op_sel:[0,1]
	v_fmac_f64_e32 v[6:7], s[18:19], v[4:5]
	v_cndmask_b32_e64 v3, v3, v7, s[2:3]
	v_cndmask_b32_e64 v2, v2, v6, s[2:3]
	v_fma_f64 v[20:21], -v[22:23], v[2:3], v[4:5]
	global_store_dwordx4 v[26:27], v[14:17], off
	global_store_dwordx4 v[26:27], v[18:21], off offset:16
	s_branch .LBB4_55
.LBB4_66:
	s_endpgm
	.section	.rodata,"a",@progbits
	.p2align	6, 0x0
	.amdhsa_kernel _ZN2at6native12_GLOBAL__N_125multi_tensor_apply_kernelINS1_18TensorListMetadataILi2EEENS1_19FusedSgdMathFunctorIdLi2EEEJddPfddbbbS7_S7_EEEvT_T0_DpT1_
		.amdhsa_group_segment_fixed_size 0
		.amdhsa_private_segment_fixed_size 0
		.amdhsa_kernarg_size 3472
		.amdhsa_user_sgpr_count 6
		.amdhsa_user_sgpr_private_segment_buffer 1
		.amdhsa_user_sgpr_dispatch_ptr 0
		.amdhsa_user_sgpr_queue_ptr 0
		.amdhsa_user_sgpr_kernarg_segment_ptr 1
		.amdhsa_user_sgpr_dispatch_id 0
		.amdhsa_user_sgpr_flat_scratch_init 0
		.amdhsa_user_sgpr_kernarg_preload_length 0
		.amdhsa_user_sgpr_kernarg_preload_offset 0
		.amdhsa_user_sgpr_private_segment_size 0
		.amdhsa_uses_dynamic_stack 0
		.amdhsa_system_sgpr_private_segment_wavefront_offset 0
		.amdhsa_system_sgpr_workgroup_id_x 1
		.amdhsa_system_sgpr_workgroup_id_y 0
		.amdhsa_system_sgpr_workgroup_id_z 0
		.amdhsa_system_sgpr_workgroup_info 0
		.amdhsa_system_vgpr_workitem_id 0
		.amdhsa_next_free_vgpr 40
		.amdhsa_next_free_sgpr 39
		.amdhsa_accum_offset 40
		.amdhsa_reserve_vcc 1
		.amdhsa_reserve_flat_scratch 0
		.amdhsa_float_round_mode_32 0
		.amdhsa_float_round_mode_16_64 0
		.amdhsa_float_denorm_mode_32 3
		.amdhsa_float_denorm_mode_16_64 3
		.amdhsa_dx10_clamp 1
		.amdhsa_ieee_mode 1
		.amdhsa_fp16_overflow 0
		.amdhsa_tg_split 0
		.amdhsa_exception_fp_ieee_invalid_op 0
		.amdhsa_exception_fp_denorm_src 0
		.amdhsa_exception_fp_ieee_div_zero 0
		.amdhsa_exception_fp_ieee_overflow 0
		.amdhsa_exception_fp_ieee_underflow 0
		.amdhsa_exception_fp_ieee_inexact 0
		.amdhsa_exception_int_div_zero 0
	.end_amdhsa_kernel
	.section	.text._ZN2at6native12_GLOBAL__N_125multi_tensor_apply_kernelINS1_18TensorListMetadataILi2EEENS1_19FusedSgdMathFunctorIdLi2EEEJddPfddbbbS7_S7_EEEvT_T0_DpT1_,"axG",@progbits,_ZN2at6native12_GLOBAL__N_125multi_tensor_apply_kernelINS1_18TensorListMetadataILi2EEENS1_19FusedSgdMathFunctorIdLi2EEEJddPfddbbbS7_S7_EEEvT_T0_DpT1_,comdat
.Lfunc_end4:
	.size	_ZN2at6native12_GLOBAL__N_125multi_tensor_apply_kernelINS1_18TensorListMetadataILi2EEENS1_19FusedSgdMathFunctorIdLi2EEEJddPfddbbbS7_S7_EEEvT_T0_DpT1_, .Lfunc_end4-_ZN2at6native12_GLOBAL__N_125multi_tensor_apply_kernelINS1_18TensorListMetadataILi2EEENS1_19FusedSgdMathFunctorIdLi2EEEJddPfddbbbS7_S7_EEEvT_T0_DpT1_
                                        ; -- End function
	.section	.AMDGPU.csdata,"",@progbits
; Kernel info:
; codeLenInByte = 3020
; NumSgprs: 43
; NumVgprs: 40
; NumAgprs: 0
; TotalNumVgprs: 40
; ScratchSize: 0
; MemoryBound: 1
; FloatMode: 240
; IeeeMode: 1
; LDSByteSize: 0 bytes/workgroup (compile time only)
; SGPRBlocks: 5
; VGPRBlocks: 4
; NumSGPRsForWavesPerEU: 43
; NumVGPRsForWavesPerEU: 40
; AccumOffset: 40
; Occupancy: 8
; WaveLimiterHint : 0
; COMPUTE_PGM_RSRC2:SCRATCH_EN: 0
; COMPUTE_PGM_RSRC2:USER_SGPR: 6
; COMPUTE_PGM_RSRC2:TRAP_HANDLER: 0
; COMPUTE_PGM_RSRC2:TGID_X_EN: 1
; COMPUTE_PGM_RSRC2:TGID_Y_EN: 0
; COMPUTE_PGM_RSRC2:TGID_Z_EN: 0
; COMPUTE_PGM_RSRC2:TIDIG_COMP_CNT: 0
; COMPUTE_PGM_RSRC3_GFX90A:ACCUM_OFFSET: 9
; COMPUTE_PGM_RSRC3_GFX90A:TG_SPLIT: 0
	.section	.text._ZN2at6native12_GLOBAL__N_125multi_tensor_apply_kernelINS1_18TensorListMetadataILi2EEENS1_19FusedSgdMathFunctorIfLi2EEEJddPfddbbbS7_S7_EEEvT_T0_DpT1_,"axG",@progbits,_ZN2at6native12_GLOBAL__N_125multi_tensor_apply_kernelINS1_18TensorListMetadataILi2EEENS1_19FusedSgdMathFunctorIfLi2EEEJddPfddbbbS7_S7_EEEvT_T0_DpT1_,comdat
	.globl	_ZN2at6native12_GLOBAL__N_125multi_tensor_apply_kernelINS1_18TensorListMetadataILi2EEENS1_19FusedSgdMathFunctorIfLi2EEEJddPfddbbbS7_S7_EEEvT_T0_DpT1_ ; -- Begin function _ZN2at6native12_GLOBAL__N_125multi_tensor_apply_kernelINS1_18TensorListMetadataILi2EEENS1_19FusedSgdMathFunctorIfLi2EEEJddPfddbbbS7_S7_EEEvT_T0_DpT1_
	.p2align	8
	.type	_ZN2at6native12_GLOBAL__N_125multi_tensor_apply_kernelINS1_18TensorListMetadataILi2EEENS1_19FusedSgdMathFunctorIfLi2EEEJddPfddbbbS7_S7_EEEvT_T0_DpT1_,@function
_ZN2at6native12_GLOBAL__N_125multi_tensor_apply_kernelINS1_18TensorListMetadataILi2EEENS1_19FusedSgdMathFunctorIfLi2EEEJddPfddbbbS7_S7_EEEvT_T0_DpT1_: ; @_ZN2at6native12_GLOBAL__N_125multi_tensor_apply_kernelINS1_18TensorListMetadataILi2EEENS1_19FusedSgdMathFunctorIfLi2EEEJddPfddbbbS7_S7_EEEvT_T0_DpT1_
; %bb.0:
	s_load_dwordx4 s[16:19], s[4:5], 0xc80
	s_waitcnt lgkmcnt(0)
	s_cmp_eq_u64 s[18:19], 0
	s_cselect_b64 s[0:1], -1, 0
	s_and_b64 vcc, exec, s[0:1]
	s_cbranch_vccnz .LBB5_2
; %bb.1:
	s_load_dword s0, s[18:19], 0x0
	s_waitcnt lgkmcnt(0)
	v_cmp_neq_f32_e64 s[0:1], s0, 1.0
.LBB5_2:
	s_andn2_b64 vcc, exec, s[0:1]
	s_cbranch_vccnz .LBB5_67
; %bb.3:
	v_mov_b32_e32 v1, s6
	global_load_ubyte v1, v1, s[4:5] offset:1536
	s_load_dwordx4 s[0:3], s[4:5], 0xc60
	s_add_u32 s7, s4, s6
	s_mul_hi_u32 s8, s6, 3
	s_mul_i32 s6, s6, 3
	s_addc_u32 s9, s5, 0
	s_add_u32 s6, s7, s6
	s_addc_u32 s7, s9, s8
	s_waitcnt lgkmcnt(0)
	s_cmp_eq_u64 s[0:1], 0
	s_mov_b64 s[8:9], 0
	s_waitcnt vmcnt(0)
	v_readfirstlane_b32 s10, v1
	s_cbranch_scc1 .LBB5_68
; %bb.4:
	s_load_dword s1, s[0:1], 0x0
	s_nop 0
	s_load_dword s0, s[6:7], 0x740
	s_andn2_b64 vcc, exec, s[8:9]
	s_waitcnt lgkmcnt(0)
	v_mov_b32_e32 v20, s1
	s_cbranch_vccnz .LBB5_6
.LBB5_5:
	v_cvt_f32_f64_e32 v20, s[2:3]
.LBB5_6:
	s_load_dword s1, s[4:5], 0xc78
	s_load_dwordx2 s[2:3], s[4:5], 0xc50
	s_waitcnt lgkmcnt(0)
	s_bitcmp1_b32 s1, 8
	s_cselect_b64 s[14:15], -1, 0
	s_and_b32 s6, s10, 0xff
	s_lshl_b32 s12, s6, 3
	s_load_dwordx2 s[6:7], s[4:5], s12 offset:0x400
	s_ashr_i32 s1, s0, 31
	v_cvt_f32_f64_e32 v21, s[2:3]
	s_load_dwordx2 s[2:3], s[4:5], s12 offset:0x0
	s_load_dwordx2 s[10:11], s[4:5], s12 offset:0x200
	s_lshl_b64 s[8:9], s[0:1], 16
	s_waitcnt lgkmcnt(0)
	s_sub_u32 s18, s6, s8
	s_subb_u32 s19, s7, s9
	s_lshl_b64 s[0:1], s[0:1], 18
	s_add_u32 s26, s2, s0
	s_addc_u32 s28, s3, s1
	s_and_b32 s2, s26, 15
	s_mov_b32 s3, 0
	s_add_u32 s27, s10, s0
	s_addc_u32 s29, s11, s1
	s_and_b32 s0, s27, 15
	s_mov_b32 s1, s3
	s_and_b32 s6, s6, 3
	s_mov_b32 s7, s3
	s_or_b64 s[0:1], s[6:7], s[0:1]
	s_or_b64 s[0:1], s[0:1], s[2:3]
	s_cmp_eq_u64 s[0:1], 0
	s_mov_b64 s[0:1], -1
	s_cbranch_scc1 .LBB5_53
; %bb.7:
	v_cmp_lt_i64_e64 s[0:1], s[18:19], 1
	s_and_b64 vcc, exec, s[0:1]
	s_cbranch_vccnz .LBB5_52
; %bb.8:
	s_load_dword s2, s[4:5], 0xc9c
	v_mov_b32_e32 v2, 0x10000
	v_mov_b32_e32 v3, 0
	v_cmp_lt_i64_e32 vcc, s[18:19], v[2:3]
	s_and_b64 s[0:1], vcc, exec
	s_cselect_b32 s21, s19, 0
	s_cselect_b32 s20, s18, 0x10000
	s_waitcnt lgkmcnt(0)
	s_and_b32 s30, s2, 0xffff
	s_lshl_b32 s31, s30, 1
	s_cmp_lg_u64 s[16:17], 0
	s_cselect_b64 s[2:3], -1, 0
	s_mov_b32 s6, 0
	v_cndmask_b32_e64 v2, 0, 1, s[2:3]
	v_mov_b32_e32 v1, 0
	s_mul_i32 s33, s30, 3
	s_mov_b64 s[22:23], 0
	v_cmp_neq_f32_e64 s[0:1], 0, v21
	s_lshl_b32 s34, s30, 2
	v_mov_b32_e32 v10, s6
	v_mov_b32_e32 v11, s6
	;; [unrolled: 1-line block ×3, first 2 shown]
	v_cmp_ne_u32_e64 s[2:3], 1, v2
	s_branch .LBB5_11
.LBB5_9:                                ;   in Loop: Header=BB5_11 Depth=1
	s_or_b64 exec, exec, s[6:7]
.LBB5_10:                               ;   in Loop: Header=BB5_11 Depth=1
	s_add_i32 s22, s22, s34
	s_ashr_i32 s23, s22, 31
	v_pk_mov_b32 v[2:3], s[20:21], s[20:21] op_sel:[0,1]
	v_cmp_lt_i64_e32 vcc, s[22:23], v[2:3]
	s_cbranch_vccz .LBB5_52
.LBB5_11:                               ; =>This Inner Loop Header: Depth=1
	v_mov_b32_e32 v3, s23
	v_add_co_u32_e32 v2, vcc, s22, v0
	v_addc_co_u32_e32 v3, vcc, 0, v3, vcc
	v_cmp_gt_i64_e64 s[6:7], s[20:21], v[2:3]
	s_waitcnt vmcnt(0)
	v_mov_b32_e32 v17, 0
	s_and_saveexec_b64 s[8:9], s[6:7]
	s_cbranch_execz .LBB5_13
; %bb.12:                               ;   in Loop: Header=BB5_11 Depth=1
	v_lshlrev_b64 v[4:5], 2, v[2:3]
	v_mov_b32_e32 v6, s28
	v_add_co_u32_e32 v4, vcc, s26, v4
	v_addc_co_u32_e32 v5, vcc, v6, v5, vcc
	global_load_dword v17, v[4:5], off
.LBB5_13:                               ;   in Loop: Header=BB5_11 Depth=1
	s_or_b64 exec, exec, s[8:9]
	v_mov_b32_e32 v16, 0
	v_mov_b32_e32 v13, 0
	s_and_saveexec_b64 s[8:9], s[6:7]
	s_cbranch_execz .LBB5_15
; %bb.14:                               ;   in Loop: Header=BB5_11 Depth=1
	v_lshlrev_b64 v[4:5], 2, v[2:3]
	v_mov_b32_e32 v6, s29
	v_add_co_u32_e32 v4, vcc, s27, v4
	v_addc_co_u32_e32 v5, vcc, v6, v5, vcc
	global_load_dword v13, v[4:5], off
.LBB5_15:                               ;   in Loop: Header=BB5_11 Depth=1
	s_or_b64 exec, exec, s[8:9]
	v_add_co_u32_e32 v4, vcc, s30, v2
	v_addc_co_u32_e32 v5, vcc, v3, v10, vcc
	v_cmp_gt_i64_e64 s[8:9], s[20:21], v[4:5]
	s_and_saveexec_b64 s[10:11], s[8:9]
	s_cbranch_execz .LBB5_17
; %bb.16:                               ;   in Loop: Header=BB5_11 Depth=1
	v_lshlrev_b64 v[6:7], 2, v[4:5]
	v_mov_b32_e32 v8, s28
	v_add_co_u32_e32 v6, vcc, s26, v6
	v_addc_co_u32_e32 v7, vcc, v8, v7, vcc
	global_load_dword v16, v[6:7], off
.LBB5_17:                               ;   in Loop: Header=BB5_11 Depth=1
	s_or_b64 exec, exec, s[10:11]
	v_mov_b32_e32 v19, 0
	v_mov_b32_e32 v14, 0
	s_and_saveexec_b64 s[10:11], s[8:9]
	s_cbranch_execz .LBB5_19
; %bb.18:                               ;   in Loop: Header=BB5_11 Depth=1
	v_lshlrev_b64 v[6:7], 2, v[4:5]
	v_mov_b32_e32 v8, s29
	v_add_co_u32_e32 v6, vcc, s27, v6
	v_addc_co_u32_e32 v7, vcc, v8, v7, vcc
	global_load_dword v14, v[6:7], off
.LBB5_19:                               ;   in Loop: Header=BB5_11 Depth=1
	s_or_b64 exec, exec, s[10:11]
	v_add_co_u32_e32 v6, vcc, s31, v2
	v_addc_co_u32_e32 v7, vcc, v3, v11, vcc
	v_cmp_gt_i64_e64 s[10:11], s[20:21], v[6:7]
	;; [unrolled: 25-line block ×3, first 2 shown]
	s_and_saveexec_b64 s[24:25], s[12:13]
	s_cbranch_execnz .LBB5_38
; %bb.24:                               ;   in Loop: Header=BB5_11 Depth=1
	s_or_b64 exec, exec, s[24:25]
	v_mov_b32_e32 v18, 0
	s_and_saveexec_b64 s[24:25], s[12:13]
	s_cbranch_execnz .LBB5_39
.LBB5_25:                               ;   in Loop: Header=BB5_11 Depth=1
	s_or_b64 exec, exec, s[24:25]
	s_and_b64 vcc, exec, s[2:3]
	s_cbranch_vccnz .LBB5_27
.LBB5_26:                               ;   in Loop: Header=BB5_11 Depth=1
	global_load_dword v23, v1, s[16:17]
	s_waitcnt vmcnt(0)
	v_div_scale_f32 v24, s[24:25], v23, v23, v13
	v_rcp_f32_e32 v25, v24
	v_div_scale_f32 v26, vcc, v13, v23, v13
	v_fma_f32 v27, -v24, v25, 1.0
	v_fmac_f32_e32 v25, v27, v25
	v_mul_f32_e32 v27, v26, v25
	v_fma_f32 v28, -v24, v27, v26
	v_fmac_f32_e32 v27, v28, v25
	v_fma_f32 v24, -v24, v27, v26
	v_div_fmas_f32 v24, v24, v25, v27
	v_div_fixup_f32 v13, v24, v23, v13
.LBB5_27:                               ;   in Loop: Header=BB5_11 Depth=1
	s_and_b64 vcc, exec, s[2:3]
	s_cbranch_vccnz .LBB5_29
; %bb.28:                               ;   in Loop: Header=BB5_11 Depth=1
	global_load_dword v23, v1, s[16:17]
	s_waitcnt vmcnt(0)
	v_div_scale_f32 v24, s[24:25], v23, v23, v14
	v_rcp_f32_e32 v25, v24
	v_div_scale_f32 v26, vcc, v14, v23, v14
	v_fma_f32 v27, -v24, v25, 1.0
	v_fmac_f32_e32 v25, v27, v25
	v_mul_f32_e32 v27, v26, v25
	v_fma_f32 v28, -v24, v27, v26
	v_fmac_f32_e32 v27, v28, v25
	v_fma_f32 v24, -v24, v27, v26
	v_div_fmas_f32 v24, v24, v25, v27
	v_div_fixup_f32 v14, v24, v23, v14
.LBB5_29:                               ;   in Loop: Header=BB5_11 Depth=1
	s_and_b64 vcc, exec, s[2:3]
	s_cbranch_vccnz .LBB5_31
; %bb.30:                               ;   in Loop: Header=BB5_11 Depth=1
	global_load_dword v23, v1, s[16:17]
	s_waitcnt vmcnt(0)
	v_div_scale_f32 v24, s[24:25], v23, v23, v15
	v_rcp_f32_e32 v25, v24
	v_div_scale_f32 v26, vcc, v15, v23, v15
	v_fma_f32 v27, -v24, v25, 1.0
	v_fmac_f32_e32 v25, v27, v25
	v_mul_f32_e32 v27, v26, v25
	v_fma_f32 v28, -v24, v27, v26
	v_fmac_f32_e32 v27, v28, v25
	v_fma_f32 v24, -v24, v27, v26
	v_div_fmas_f32 v24, v24, v25, v27
	v_div_fixup_f32 v15, v24, v23, v15
.LBB5_31:                               ;   in Loop: Header=BB5_11 Depth=1
	;; [unrolled: 17-line block ×3, first 2 shown]
	s_and_saveexec_b64 s[24:25], s[6:7]
	s_cbranch_execnz .LBB5_40
; %bb.34:                               ;   in Loop: Header=BB5_11 Depth=1
	s_or_b64 exec, exec, s[24:25]
	s_and_saveexec_b64 s[24:25], s[8:9]
	s_cbranch_execnz .LBB5_41
.LBB5_35:                               ;   in Loop: Header=BB5_11 Depth=1
	s_or_b64 exec, exec, s[24:25]
	s_and_saveexec_b64 s[24:25], s[10:11]
	s_cbranch_execnz .LBB5_42
.LBB5_36:                               ;   in Loop: Header=BB5_11 Depth=1
	s_or_b64 exec, exec, s[24:25]
	s_and_saveexec_b64 s[24:25], s[12:13]
	s_cbranch_execnz .LBB5_43
.LBB5_37:                               ;   in Loop: Header=BB5_11 Depth=1
	s_or_b64 exec, exec, s[24:25]
	s_and_b64 vcc, exec, s[2:3]
	s_cbranch_vccz .LBB5_44
	s_branch .LBB5_10
.LBB5_38:                               ;   in Loop: Header=BB5_11 Depth=1
	v_lshlrev_b64 v[22:23], 2, v[8:9]
	v_mov_b32_e32 v18, s28
	v_add_co_u32_e32 v22, vcc, s26, v22
	v_addc_co_u32_e32 v23, vcc, v18, v23, vcc
	global_load_dword v22, v[22:23], off
	s_or_b64 exec, exec, s[24:25]
	v_mov_b32_e32 v18, 0
	s_and_saveexec_b64 s[24:25], s[12:13]
	s_cbranch_execz .LBB5_25
.LBB5_39:                               ;   in Loop: Header=BB5_11 Depth=1
	v_lshlrev_b64 v[24:25], 2, v[8:9]
	v_mov_b32_e32 v18, s29
	v_add_co_u32_e32 v24, vcc, s27, v24
	v_addc_co_u32_e32 v25, vcc, v18, v25, vcc
	global_load_dword v18, v[24:25], off
	s_or_b64 exec, exec, s[24:25]
	s_and_b64 vcc, exec, s[2:3]
	s_cbranch_vccz .LBB5_26
	s_branch .LBB5_27
.LBB5_40:                               ;   in Loop: Header=BB5_11 Depth=1
	s_waitcnt vmcnt(0)
	v_cndmask_b32_e64 v23, v13, -v13, s[14:15]
	v_fma_f32 v24, v17, v21, v23
	v_cndmask_b32_e64 v23, v23, v24, s[0:1]
	v_lshlrev_b64 v[24:25], 2, v[2:3]
	v_fma_f32 v17, -v20, v23, v17
	v_mov_b32_e32 v23, s28
	v_add_co_u32_e32 v24, vcc, s26, v24
	v_addc_co_u32_e32 v25, vcc, v23, v25, vcc
	global_store_dword v[24:25], v17, off
	s_or_b64 exec, exec, s[24:25]
	s_and_saveexec_b64 s[24:25], s[8:9]
	s_cbranch_execz .LBB5_35
.LBB5_41:                               ;   in Loop: Header=BB5_11 Depth=1
	s_waitcnt vmcnt(0)
	v_cndmask_b32_e64 v17, v14, -v14, s[14:15]
	v_fma_f32 v23, v16, v21, v17
	v_cndmask_b32_e64 v17, v17, v23, s[0:1]
	v_fma_f32 v23, -v20, v17, v16
	v_lshlrev_b64 v[16:17], 2, v[4:5]
	v_mov_b32_e32 v24, s28
	v_add_co_u32_e32 v16, vcc, s26, v16
	v_addc_co_u32_e32 v17, vcc, v24, v17, vcc
	global_store_dword v[16:17], v23, off
	s_or_b64 exec, exec, s[24:25]
	s_and_saveexec_b64 s[24:25], s[10:11]
	s_cbranch_execz .LBB5_36
.LBB5_42:                               ;   in Loop: Header=BB5_11 Depth=1
	s_waitcnt vmcnt(0)
	v_cndmask_b32_e64 v16, v15, -v15, s[14:15]
	v_fma_f32 v17, v19, v21, v16
	v_cndmask_b32_e64 v16, v16, v17, s[0:1]
	v_fma_f32 v19, -v20, v16, v19
	v_lshlrev_b64 v[16:17], 2, v[6:7]
	v_mov_b32_e32 v23, s28
	v_add_co_u32_e32 v16, vcc, s26, v16
	v_addc_co_u32_e32 v17, vcc, v23, v17, vcc
	global_store_dword v[16:17], v19, off
	s_or_b64 exec, exec, s[24:25]
	s_and_saveexec_b64 s[24:25], s[12:13]
	s_cbranch_execz .LBB5_37
.LBB5_43:                               ;   in Loop: Header=BB5_11 Depth=1
	s_waitcnt vmcnt(0)
	v_cndmask_b32_e64 v16, v18, -v18, s[14:15]
	v_fma_f32 v17, v22, v21, v16
	v_cndmask_b32_e64 v16, v16, v17, s[0:1]
	v_fma_f32 v19, -v20, v16, v22
	v_lshlrev_b64 v[16:17], 2, v[8:9]
	v_mov_b32_e32 v22, s28
	v_add_co_u32_e32 v16, vcc, s26, v16
	v_addc_co_u32_e32 v17, vcc, v22, v17, vcc
	global_store_dword v[16:17], v19, off
	s_or_b64 exec, exec, s[24:25]
	s_and_b64 vcc, exec, s[2:3]
	s_cbranch_vccnz .LBB5_10
.LBB5_44:                               ;   in Loop: Header=BB5_11 Depth=1
	s_and_saveexec_b64 s[24:25], s[6:7]
	s_cbranch_execnz .LBB5_48
; %bb.45:                               ;   in Loop: Header=BB5_11 Depth=1
	s_or_b64 exec, exec, s[24:25]
	s_and_saveexec_b64 s[6:7], s[8:9]
	s_cbranch_execnz .LBB5_49
.LBB5_46:                               ;   in Loop: Header=BB5_11 Depth=1
	s_or_b64 exec, exec, s[6:7]
	s_and_saveexec_b64 s[6:7], s[10:11]
	s_cbranch_execnz .LBB5_50
.LBB5_47:                               ;   in Loop: Header=BB5_11 Depth=1
	s_or_b64 exec, exec, s[6:7]
	s_and_saveexec_b64 s[6:7], s[12:13]
	s_cbranch_execz .LBB5_9
	s_branch .LBB5_51
.LBB5_48:                               ;   in Loop: Header=BB5_11 Depth=1
	v_lshlrev_b64 v[2:3], 2, v[2:3]
	s_waitcnt vmcnt(0)
	v_mov_b32_e32 v16, s29
	v_add_co_u32_e32 v2, vcc, s27, v2
	v_addc_co_u32_e32 v3, vcc, v16, v3, vcc
	global_store_dword v[2:3], v13, off
	s_or_b64 exec, exec, s[24:25]
	s_and_saveexec_b64 s[6:7], s[8:9]
	s_cbranch_execz .LBB5_46
.LBB5_49:                               ;   in Loop: Header=BB5_11 Depth=1
	v_lshlrev_b64 v[2:3], 2, v[4:5]
	v_mov_b32_e32 v4, s29
	v_add_co_u32_e32 v2, vcc, s27, v2
	v_addc_co_u32_e32 v3, vcc, v4, v3, vcc
	s_waitcnt vmcnt(0)
	global_store_dword v[2:3], v14, off
	s_or_b64 exec, exec, s[6:7]
	s_and_saveexec_b64 s[6:7], s[10:11]
	s_cbranch_execz .LBB5_47
.LBB5_50:                               ;   in Loop: Header=BB5_11 Depth=1
	v_lshlrev_b64 v[2:3], 2, v[6:7]
	v_mov_b32_e32 v4, s29
	v_add_co_u32_e32 v2, vcc, s27, v2
	v_addc_co_u32_e32 v3, vcc, v4, v3, vcc
	s_waitcnt vmcnt(0)
	global_store_dword v[2:3], v15, off
	s_or_b64 exec, exec, s[6:7]
	s_and_saveexec_b64 s[6:7], s[12:13]
	s_cbranch_execz .LBB5_9
.LBB5_51:                               ;   in Loop: Header=BB5_11 Depth=1
	v_lshlrev_b64 v[2:3], 2, v[8:9]
	v_mov_b32_e32 v4, s29
	v_add_co_u32_e32 v2, vcc, s27, v2
	v_addc_co_u32_e32 v3, vcc, v4, v3, vcc
	s_waitcnt vmcnt(0)
	global_store_dword v[2:3], v18, off
	s_branch .LBB5_9
.LBB5_52:
	s_mov_b64 s[0:1], 0
.LBB5_53:
	s_andn2_b64 vcc, exec, s[0:1]
	s_cbranch_vccnz .LBB5_67
; %bb.54:
	s_waitcnt vmcnt(0)
	v_mov_b32_e32 v15, 0
	v_lshlrev_b32_e32 v14, 2, v0
	v_cmp_gt_i64_e32 vcc, s[18:19], v[14:15]
	s_and_saveexec_b64 s[0:1], vcc
	s_cbranch_execz .LBB5_67
; %bb.55:
	s_load_dword s4, s[4:5], 0xc9c
	s_cmp_lg_u64 s[16:17], 0
	s_cselect_b64 s[2:3], -1, 0
	v_cndmask_b32_e64 v2, 0, 1, s[2:3]
	v_mov_b32_e32 v1, v15
	s_mov_b64 s[6:7], 0
	v_cmp_neq_f32_e64 s[0:1], 0, v21
	s_waitcnt lgkmcnt(0)
	s_and_b32 s8, s4, 0xffff
	v_mov_b32_e32 v22, s28
	v_mov_b32_e32 v23, s29
	v_cmp_ne_u32_e64 s[2:3], 1, v2
	s_movk_i32 s9, 0x3fff
	s_branch .LBB5_57
.LBB5_56:                               ;   in Loop: Header=BB5_57 Depth=1
	v_add_u32_e32 v14, s8, v0
	v_lshlrev_b64 v[0:1], 2, v[14:15]
	v_cmp_le_u64_e32 vcc, s[18:19], v[0:1]
	v_cmp_lt_u32_e64 s[4:5], s9, v14
	s_or_b64 s[4:5], s[4:5], vcc
	s_and_b64 s[4:5], exec, s[4:5]
	s_or_b64 s[6:7], s[4:5], s[6:7]
	v_pk_mov_b32 v[0:1], v[14:15], v[14:15] op_sel:[0,1]
	s_andn2_b64 exec, exec, s[6:7]
	s_cbranch_execz .LBB5_67
.LBB5_57:                               ; =>This Inner Loop Header: Depth=1
	v_lshlrev_b64 v[6:7], 4, v[0:1]
	v_add_co_u32_e32 v16, vcc, s26, v6
	v_addc_co_u32_e32 v17, vcc, v22, v7, vcc
	v_add_co_u32_e32 v18, vcc, s27, v6
	v_addc_co_u32_e32 v19, vcc, v23, v7, vcc
	global_load_dwordx4 v[2:5], v[16:17], off
	global_load_dwordx4 v[6:9], v[18:19], off
	s_and_b64 vcc, exec, s[2:3]
	s_cbranch_vccnz .LBB5_59
; %bb.58:                               ;   in Loop: Header=BB5_57 Depth=1
	global_load_dword v1, v15, s[16:17]
	s_waitcnt vmcnt(0)
	v_div_scale_f32 v10, s[4:5], v1, v1, v6
	v_rcp_f32_e32 v11, v10
	v_div_scale_f32 v12, vcc, v6, v1, v6
	v_fma_f32 v13, -v10, v11, 1.0
	v_fmac_f32_e32 v11, v13, v11
	v_mul_f32_e32 v13, v12, v11
	v_fma_f32 v14, -v10, v13, v12
	v_fmac_f32_e32 v13, v14, v11
	v_fma_f32 v10, -v10, v13, v12
	v_div_fmas_f32 v10, v10, v11, v13
	v_div_fixup_f32 v6, v10, v1, v6
.LBB5_59:                               ;   in Loop: Header=BB5_57 Depth=1
	s_and_b64 vcc, exec, s[2:3]
	s_cbranch_vccnz .LBB5_61
; %bb.60:                               ;   in Loop: Header=BB5_57 Depth=1
	global_load_dword v1, v15, s[16:17]
	s_waitcnt vmcnt(0)
	v_div_scale_f32 v10, s[4:5], v1, v1, v7
	v_rcp_f32_e32 v11, v10
	v_div_scale_f32 v12, vcc, v7, v1, v7
	v_fma_f32 v13, -v10, v11, 1.0
	v_fmac_f32_e32 v11, v13, v11
	v_mul_f32_e32 v13, v12, v11
	v_fma_f32 v14, -v10, v13, v12
	v_fmac_f32_e32 v13, v14, v11
	v_fma_f32 v10, -v10, v13, v12
	v_div_fmas_f32 v10, v10, v11, v13
	v_div_fixup_f32 v7, v10, v1, v7
.LBB5_61:                               ;   in Loop: Header=BB5_57 Depth=1
	;; [unrolled: 17-line block ×3, first 2 shown]
	s_waitcnt vmcnt(0)
	v_cndmask_b32_e64 v1, v7, -v7, s[14:15]
	v_fma_f32 v10, v3, v21, v1
	v_cndmask_b32_e64 v1, v1, v10, s[0:1]
	v_fma_f32 v11, -v20, v1, v3
	v_cndmask_b32_e64 v1, v6, -v6, s[14:15]
	v_fma_f32 v3, v2, v21, v1
	v_cndmask_b32_e64 v1, v1, v3, s[0:1]
	v_fma_f32 v10, -v20, v1, v2
	v_cndmask_b32_e64 v1, v8, -v8, s[14:15]
	v_fma_f32 v2, v4, v21, v1
	v_cndmask_b32_e64 v1, v1, v2, s[0:1]
	s_and_b64 vcc, exec, s[2:3]
	v_fma_f32 v12, -v20, v1, v4
	s_cbranch_vccnz .LBB5_65
; %bb.64:                               ;   in Loop: Header=BB5_57 Depth=1
	global_load_dword v1, v15, s[16:17]
	v_mov_b32_e32 v24, v6
	v_mov_b32_e32 v25, v7
	v_mov_b32_e32 v26, v8
	s_waitcnt vmcnt(0)
	v_div_scale_f32 v2, s[4:5], v1, v1, v9
	v_rcp_f32_e32 v3, v2
	v_div_scale_f32 v4, vcc, v9, v1, v9
	v_fma_f32 v6, -v2, v3, 1.0
	v_fmac_f32_e32 v3, v6, v3
	v_mul_f32_e32 v6, v4, v3
	v_fma_f32 v7, -v2, v6, v4
	v_fmac_f32_e32 v6, v7, v3
	v_fma_f32 v2, -v2, v6, v4
	v_div_fmas_f32 v2, v2, v3, v6
	v_div_fixup_f32 v27, v2, v1, v9
	v_cndmask_b32_e64 v1, v27, -v27, s[14:15]
	v_fma_f32 v2, v5, v21, v1
	v_cndmask_b32_e64 v1, v1, v2, s[0:1]
	v_fma_f32 v13, -v20, v1, v5
	global_store_dwordx4 v[16:17], v[10:13], off
	global_store_dwordx4 v[18:19], v[24:27], off
	s_cbranch_execnz .LBB5_56
	s_branch .LBB5_66
.LBB5_65:                               ;   in Loop: Header=BB5_57 Depth=1
.LBB5_66:                               ;   in Loop: Header=BB5_57 Depth=1
	v_cndmask_b32_e64 v1, v9, -v9, s[14:15]
	v_fma_f32 v2, v5, v21, v1
	v_cndmask_b32_e64 v1, v1, v2, s[0:1]
	v_fma_f32 v13, -v20, v1, v5
	global_store_dwordx4 v[16:17], v[10:13], off
	s_branch .LBB5_56
.LBB5_67:
	s_endpgm
.LBB5_68:
                                        ; implicit-def: $sgpr1
	s_load_dword s0, s[6:7], 0x740
	v_mov_b32_e32 v20, s1
	s_branch .LBB5_5
	.section	.rodata,"a",@progbits
	.p2align	6, 0x0
	.amdhsa_kernel _ZN2at6native12_GLOBAL__N_125multi_tensor_apply_kernelINS1_18TensorListMetadataILi2EEENS1_19FusedSgdMathFunctorIfLi2EEEJddPfddbbbS7_S7_EEEvT_T0_DpT1_
		.amdhsa_group_segment_fixed_size 0
		.amdhsa_private_segment_fixed_size 0
		.amdhsa_kernarg_size 3472
		.amdhsa_user_sgpr_count 6
		.amdhsa_user_sgpr_private_segment_buffer 1
		.amdhsa_user_sgpr_dispatch_ptr 0
		.amdhsa_user_sgpr_queue_ptr 0
		.amdhsa_user_sgpr_kernarg_segment_ptr 1
		.amdhsa_user_sgpr_dispatch_id 0
		.amdhsa_user_sgpr_flat_scratch_init 0
		.amdhsa_user_sgpr_kernarg_preload_length 0
		.amdhsa_user_sgpr_kernarg_preload_offset 0
		.amdhsa_user_sgpr_private_segment_size 0
		.amdhsa_uses_dynamic_stack 0
		.amdhsa_system_sgpr_private_segment_wavefront_offset 0
		.amdhsa_system_sgpr_workgroup_id_x 1
		.amdhsa_system_sgpr_workgroup_id_y 0
		.amdhsa_system_sgpr_workgroup_id_z 0
		.amdhsa_system_sgpr_workgroup_info 0
		.amdhsa_system_vgpr_workitem_id 0
		.amdhsa_next_free_vgpr 29
		.amdhsa_next_free_sgpr 35
		.amdhsa_accum_offset 32
		.amdhsa_reserve_vcc 1
		.amdhsa_reserve_flat_scratch 0
		.amdhsa_float_round_mode_32 0
		.amdhsa_float_round_mode_16_64 0
		.amdhsa_float_denorm_mode_32 3
		.amdhsa_float_denorm_mode_16_64 3
		.amdhsa_dx10_clamp 1
		.amdhsa_ieee_mode 1
		.amdhsa_fp16_overflow 0
		.amdhsa_tg_split 0
		.amdhsa_exception_fp_ieee_invalid_op 0
		.amdhsa_exception_fp_denorm_src 0
		.amdhsa_exception_fp_ieee_div_zero 0
		.amdhsa_exception_fp_ieee_overflow 0
		.amdhsa_exception_fp_ieee_underflow 0
		.amdhsa_exception_fp_ieee_inexact 0
		.amdhsa_exception_int_div_zero 0
	.end_amdhsa_kernel
	.section	.text._ZN2at6native12_GLOBAL__N_125multi_tensor_apply_kernelINS1_18TensorListMetadataILi2EEENS1_19FusedSgdMathFunctorIfLi2EEEJddPfddbbbS7_S7_EEEvT_T0_DpT1_,"axG",@progbits,_ZN2at6native12_GLOBAL__N_125multi_tensor_apply_kernelINS1_18TensorListMetadataILi2EEENS1_19FusedSgdMathFunctorIfLi2EEEJddPfddbbbS7_S7_EEEvT_T0_DpT1_,comdat
.Lfunc_end5:
	.size	_ZN2at6native12_GLOBAL__N_125multi_tensor_apply_kernelINS1_18TensorListMetadataILi2EEENS1_19FusedSgdMathFunctorIfLi2EEEJddPfddbbbS7_S7_EEEvT_T0_DpT1_, .Lfunc_end5-_ZN2at6native12_GLOBAL__N_125multi_tensor_apply_kernelINS1_18TensorListMetadataILi2EEENS1_19FusedSgdMathFunctorIfLi2EEEJddPfddbbbS7_S7_EEEvT_T0_DpT1_
                                        ; -- End function
	.section	.AMDGPU.csdata,"",@progbits
; Kernel info:
; codeLenInByte = 2692
; NumSgprs: 39
; NumVgprs: 29
; NumAgprs: 0
; TotalNumVgprs: 29
; ScratchSize: 0
; MemoryBound: 0
; FloatMode: 240
; IeeeMode: 1
; LDSByteSize: 0 bytes/workgroup (compile time only)
; SGPRBlocks: 4
; VGPRBlocks: 3
; NumSGPRsForWavesPerEU: 39
; NumVGPRsForWavesPerEU: 29
; AccumOffset: 32
; Occupancy: 8
; WaveLimiterHint : 0
; COMPUTE_PGM_RSRC2:SCRATCH_EN: 0
; COMPUTE_PGM_RSRC2:USER_SGPR: 6
; COMPUTE_PGM_RSRC2:TRAP_HANDLER: 0
; COMPUTE_PGM_RSRC2:TGID_X_EN: 1
; COMPUTE_PGM_RSRC2:TGID_Y_EN: 0
; COMPUTE_PGM_RSRC2:TGID_Z_EN: 0
; COMPUTE_PGM_RSRC2:TIDIG_COMP_CNT: 0
; COMPUTE_PGM_RSRC3_GFX90A:ACCUM_OFFSET: 7
; COMPUTE_PGM_RSRC3_GFX90A:TG_SPLIT: 0
	.section	.text._ZN2at6native12_GLOBAL__N_125multi_tensor_apply_kernelINS1_18TensorListMetadataILi2EEENS1_19FusedSgdMathFunctorIN3c104HalfELi2EEEJddPfddbbbS9_S9_EEEvT_T0_DpT1_,"axG",@progbits,_ZN2at6native12_GLOBAL__N_125multi_tensor_apply_kernelINS1_18TensorListMetadataILi2EEENS1_19FusedSgdMathFunctorIN3c104HalfELi2EEEJddPfddbbbS9_S9_EEEvT_T0_DpT1_,comdat
	.globl	_ZN2at6native12_GLOBAL__N_125multi_tensor_apply_kernelINS1_18TensorListMetadataILi2EEENS1_19FusedSgdMathFunctorIN3c104HalfELi2EEEJddPfddbbbS9_S9_EEEvT_T0_DpT1_ ; -- Begin function _ZN2at6native12_GLOBAL__N_125multi_tensor_apply_kernelINS1_18TensorListMetadataILi2EEENS1_19FusedSgdMathFunctorIN3c104HalfELi2EEEJddPfddbbbS9_S9_EEEvT_T0_DpT1_
	.p2align	8
	.type	_ZN2at6native12_GLOBAL__N_125multi_tensor_apply_kernelINS1_18TensorListMetadataILi2EEENS1_19FusedSgdMathFunctorIN3c104HalfELi2EEEJddPfddbbbS9_S9_EEEvT_T0_DpT1_,@function
_ZN2at6native12_GLOBAL__N_125multi_tensor_apply_kernelINS1_18TensorListMetadataILi2EEENS1_19FusedSgdMathFunctorIN3c104HalfELi2EEEJddPfddbbbS9_S9_EEEvT_T0_DpT1_: ; @_ZN2at6native12_GLOBAL__N_125multi_tensor_apply_kernelINS1_18TensorListMetadataILi2EEENS1_19FusedSgdMathFunctorIN3c104HalfELi2EEEJddPfddbbbS9_S9_EEEvT_T0_DpT1_
; %bb.0:
	s_load_dwordx4 s[16:19], s[4:5], 0xc80
	s_waitcnt lgkmcnt(0)
	s_cmp_eq_u64 s[18:19], 0
	s_cselect_b64 s[0:1], -1, 0
	s_and_b64 vcc, exec, s[0:1]
	s_cbranch_vccnz .LBB6_2
; %bb.1:
	s_load_dword s0, s[18:19], 0x0
	s_waitcnt lgkmcnt(0)
	v_cmp_neq_f32_e64 s[0:1], s0, 1.0
.LBB6_2:
	s_andn2_b64 vcc, exec, s[0:1]
	s_cbranch_vccnz .LBB6_59
; %bb.3:
	v_mov_b32_e32 v1, s6
	global_load_ubyte v1, v1, s[4:5] offset:1536
	s_load_dwordx4 s[0:3], s[4:5], 0xc60
	s_add_u32 s7, s4, s6
	s_mul_hi_u32 s8, s6, 3
	s_mul_i32 s6, s6, 3
	s_addc_u32 s9, s5, 0
	s_add_u32 s6, s7, s6
	s_addc_u32 s7, s9, s8
	s_waitcnt lgkmcnt(0)
	s_cmp_eq_u64 s[0:1], 0
	s_mov_b64 s[8:9], 0
	s_waitcnt vmcnt(0)
	v_readfirstlane_b32 s10, v1
	s_cbranch_scc1 .LBB6_60
; %bb.4:
	s_load_dword s1, s[0:1], 0x0
	s_nop 0
	s_load_dword s0, s[6:7], 0x740
	s_andn2_b64 vcc, exec, s[8:9]
	s_waitcnt lgkmcnt(0)
	v_mov_b32_e32 v12, s1
	s_cbranch_vccnz .LBB6_6
.LBB6_5:
	v_cvt_f32_f64_e32 v12, s[2:3]
.LBB6_6:
	s_load_dword s1, s[4:5], 0xc78
	s_load_dwordx2 s[2:3], s[4:5], 0xc50
	s_waitcnt lgkmcnt(0)
	s_bitcmp1_b32 s1, 8
	s_cselect_b64 s[14:15], -1, 0
	s_and_b32 s6, s10, 0xff
	s_lshl_b32 s12, s6, 3
	s_load_dwordx2 s[6:7], s[4:5], s12 offset:0x400
	s_ashr_i32 s1, s0, 31
	v_cvt_f32_f64_e32 v13, s[2:3]
	s_load_dwordx2 s[2:3], s[4:5], s12 offset:0x0
	s_load_dwordx2 s[10:11], s[4:5], s12 offset:0x200
	s_lshl_b64 s[8:9], s[0:1], 16
	s_waitcnt lgkmcnt(0)
	s_sub_u32 s18, s6, s8
	s_subb_u32 s19, s7, s9
	s_lshl_b64 s[0:1], s[0:1], 17
	s_add_u32 s26, s2, s0
	s_addc_u32 s28, s3, s1
	s_and_b32 s2, s26, 7
	s_mov_b32 s3, 0
	s_add_u32 s27, s10, s0
	s_addc_u32 s29, s11, s1
	s_and_b32 s0, s27, 7
	s_mov_b32 s1, s3
	s_and_b32 s6, s6, 3
	s_mov_b32 s7, s3
	s_or_b64 s[0:1], s[6:7], s[0:1]
	s_or_b64 s[0:1], s[0:1], s[2:3]
	s_cmp_eq_u64 s[0:1], 0
	s_mov_b64 s[0:1], -1
	s_cbranch_scc1 .LBB6_45
; %bb.7:
	v_cmp_lt_i64_e64 s[0:1], s[18:19], 1
	s_and_b64 vcc, exec, s[0:1]
	s_cbranch_vccnz .LBB6_44
; %bb.8:
	s_load_dword s2, s[4:5], 0xc9c
	v_mov_b32_e32 v2, 0x10000
	v_mov_b32_e32 v3, 0
	v_cmp_lt_i64_e32 vcc, s[18:19], v[2:3]
	s_and_b64 s[0:1], vcc, exec
	s_cselect_b32 s21, s19, 0
	s_cselect_b32 s20, s18, 0x10000
	s_waitcnt lgkmcnt(0)
	s_and_b32 s30, s2, 0xffff
	s_lshl_b32 s31, s30, 1
	s_cmp_lg_u64 s[16:17], 0
	s_cselect_b64 s[2:3], -1, 0
	s_mov_b32 s6, 0
	v_cndmask_b32_e64 v2, 0, 1, s[2:3]
	s_mul_i32 s33, s30, 3
	s_mov_b64 s[22:23], 0
	v_cmp_neq_f32_e64 s[0:1], 0, v13
	s_lshl_b32 s34, s30, 2
	v_mov_b32_e32 v1, s6
	v_mov_b32_e32 v10, s6
	;; [unrolled: 1-line block ×3, first 2 shown]
	v_cmp_ne_u32_e64 s[2:3], 1, v2
	s_branch .LBB6_11
.LBB6_9:                                ;   in Loop: Header=BB6_11 Depth=1
	s_or_b64 exec, exec, s[6:7]
.LBB6_10:                               ;   in Loop: Header=BB6_11 Depth=1
	s_add_i32 s22, s22, s34
	s_ashr_i32 s23, s22, 31
	v_pk_mov_b32 v[2:3], s[20:21], s[20:21] op_sel:[0,1]
	v_cmp_lt_i64_e32 vcc, s[22:23], v[2:3]
	s_cbranch_vccz .LBB6_44
.LBB6_11:                               ; =>This Inner Loop Header: Depth=1
	v_mov_b32_e32 v3, s23
	v_add_co_u32_e32 v2, vcc, s22, v0
	v_addc_co_u32_e32 v3, vcc, 0, v3, vcc
	v_cmp_gt_i64_e64 s[6:7], s[20:21], v[2:3]
	v_mov_b32_e32 v19, 0
	v_mov_b32_e32 v14, 0
	s_and_saveexec_b64 s[8:9], s[6:7]
	s_cbranch_execz .LBB6_13
; %bb.12:                               ;   in Loop: Header=BB6_11 Depth=1
	v_lshlrev_b64 v[4:5], 1, v[2:3]
	v_mov_b32_e32 v7, s29
	v_add_co_u32_e32 v6, vcc, s27, v4
	v_addc_co_u32_e32 v7, vcc, v7, v5, vcc
	v_mov_b32_e32 v8, s28
	v_add_co_u32_e32 v4, vcc, s26, v4
	v_addc_co_u32_e32 v5, vcc, v8, v5, vcc
	global_load_ushort v19, v[4:5], off
	global_load_ushort v14, v[6:7], off
.LBB6_13:                               ;   in Loop: Header=BB6_11 Depth=1
	s_or_b64 exec, exec, s[8:9]
	v_add_co_u32_e32 v4, vcc, s30, v2
	v_addc_co_u32_e32 v5, vcc, v3, v1, vcc
	v_cmp_gt_i64_e64 s[8:9], s[20:21], v[4:5]
	v_mov_b32_e32 v18, 0
	v_mov_b32_e32 v20, 0
	v_mov_b32_e32 v15, 0
	s_and_saveexec_b64 s[10:11], s[8:9]
	s_cbranch_execz .LBB6_15
; %bb.14:                               ;   in Loop: Header=BB6_11 Depth=1
	v_lshlrev_b64 v[6:7], 1, v[4:5]
	v_mov_b32_e32 v9, s29
	v_add_co_u32_e32 v8, vcc, s27, v6
	v_addc_co_u32_e32 v9, vcc, v9, v7, vcc
	v_mov_b32_e32 v15, s28
	v_add_co_u32_e32 v6, vcc, s26, v6
	v_addc_co_u32_e32 v7, vcc, v15, v7, vcc
	global_load_ushort v20, v[6:7], off
	global_load_ushort v15, v[8:9], off
.LBB6_15:                               ;   in Loop: Header=BB6_11 Depth=1
	s_or_b64 exec, exec, s[10:11]
	v_add_co_u32_e32 v6, vcc, s31, v2
	v_addc_co_u32_e32 v7, vcc, v3, v10, vcc
	v_cmp_gt_i64_e64 s[10:11], s[20:21], v[6:7]
	v_mov_b32_e32 v16, 0
	s_and_saveexec_b64 s[12:13], s[10:11]
	s_cbranch_execz .LBB6_17
; %bb.16:                               ;   in Loop: Header=BB6_11 Depth=1
	v_lshlrev_b64 v[8:9], 1, v[6:7]
	v_mov_b32_e32 v16, s29
	v_add_co_u32_e32 v22, vcc, s27, v8
	v_addc_co_u32_e32 v23, vcc, v16, v9, vcc
	v_mov_b32_e32 v16, s28
	v_add_co_u32_e32 v8, vcc, s26, v8
	v_addc_co_u32_e32 v9, vcc, v16, v9, vcc
	global_load_ushort v18, v[8:9], off
	global_load_ushort v16, v[22:23], off
.LBB6_17:                               ;   in Loop: Header=BB6_11 Depth=1
	s_or_b64 exec, exec, s[12:13]
	v_add_co_u32_e32 v8, vcc, s33, v2
	v_addc_co_u32_e32 v9, vcc, v3, v11, vcc
	v_cmp_gt_i64_e64 s[12:13], s[20:21], v[8:9]
	v_mov_b32_e32 v21, 0
	v_mov_b32_e32 v17, 0
	s_and_saveexec_b64 s[24:25], s[12:13]
	s_cbranch_execz .LBB6_19
; %bb.18:                               ;   in Loop: Header=BB6_11 Depth=1
	v_lshlrev_b64 v[22:23], 1, v[8:9]
	v_mov_b32_e32 v17, s29
	v_add_co_u32_e32 v24, vcc, s27, v22
	v_addc_co_u32_e32 v25, vcc, v17, v23, vcc
	v_mov_b32_e32 v17, s28
	v_add_co_u32_e32 v22, vcc, s26, v22
	v_addc_co_u32_e32 v23, vcc, v17, v23, vcc
	global_load_ushort v21, v[22:23], off
	global_load_ushort v17, v[24:25], off
.LBB6_19:                               ;   in Loop: Header=BB6_11 Depth=1
	s_or_b64 exec, exec, s[24:25]
	s_waitcnt vmcnt(0)
	v_cvt_f32_f16_e32 v22, v14
	s_and_b64 vcc, exec, s[2:3]
	s_cbranch_vccnz .LBB6_21
; %bb.20:                               ;   in Loop: Header=BB6_11 Depth=1
	s_load_dword s23, s[16:17], 0x0
	s_waitcnt lgkmcnt(0)
	v_div_scale_f32 v14, s[24:25], s23, s23, v22
	v_rcp_f32_e32 v23, v14
	v_div_scale_f32 v24, vcc, v22, s23, v22
	v_fma_f32 v25, -v14, v23, 1.0
	v_fmac_f32_e32 v23, v25, v23
	v_mul_f32_e32 v25, v24, v23
	v_fma_f32 v26, -v14, v25, v24
	v_fmac_f32_e32 v25, v26, v23
	v_fma_f32 v14, -v14, v25, v24
	v_div_fmas_f32 v14, v14, v23, v25
	v_div_fixup_f32 v22, v14, s23, v22
	v_cvt_f16_f32_e32 v14, v22
.LBB6_21:                               ;   in Loop: Header=BB6_11 Depth=1
	v_cvt_f32_f16_e32 v23, v15
	s_and_b64 vcc, exec, s[2:3]
	s_cbranch_vccnz .LBB6_23
; %bb.22:                               ;   in Loop: Header=BB6_11 Depth=1
	s_load_dword s23, s[16:17], 0x0
	s_waitcnt lgkmcnt(0)
	v_div_scale_f32 v15, s[24:25], s23, s23, v23
	v_rcp_f32_e32 v24, v15
	v_div_scale_f32 v25, vcc, v23, s23, v23
	v_fma_f32 v26, -v15, v24, 1.0
	v_fmac_f32_e32 v24, v26, v24
	v_mul_f32_e32 v26, v25, v24
	v_fma_f32 v27, -v15, v26, v25
	v_fmac_f32_e32 v26, v27, v24
	v_fma_f32 v15, -v15, v26, v25
	v_div_fmas_f32 v15, v15, v24, v26
	v_div_fixup_f32 v23, v15, s23, v23
	v_cvt_f16_f32_e32 v15, v23
.LBB6_23:                               ;   in Loop: Header=BB6_11 Depth=1
	;; [unrolled: 19-line block ×4, first 2 shown]
	s_and_saveexec_b64 s[24:25], s[6:7]
	s_cbranch_execnz .LBB6_32
; %bb.28:                               ;   in Loop: Header=BB6_11 Depth=1
	s_or_b64 exec, exec, s[24:25]
	s_and_saveexec_b64 s[24:25], s[8:9]
	s_cbranch_execnz .LBB6_33
.LBB6_29:                               ;   in Loop: Header=BB6_11 Depth=1
	s_or_b64 exec, exec, s[24:25]
	s_and_saveexec_b64 s[24:25], s[10:11]
	s_cbranch_execnz .LBB6_34
.LBB6_30:                               ;   in Loop: Header=BB6_11 Depth=1
	s_or_b64 exec, exec, s[24:25]
	s_and_saveexec_b64 s[24:25], s[12:13]
	s_cbranch_execnz .LBB6_35
.LBB6_31:                               ;   in Loop: Header=BB6_11 Depth=1
	s_or_b64 exec, exec, s[24:25]
	s_and_b64 vcc, exec, s[2:3]
	s_cbranch_vccz .LBB6_36
	s_branch .LBB6_10
.LBB6_32:                               ;   in Loop: Header=BB6_11 Depth=1
	v_cndmask_b32_e64 v22, v22, -v22, s[14:15]
	v_fma_mix_f32 v26, v13, v19, v22 op_sel_hi:[0,1,0]
	v_cndmask_b32_e64 v22, v22, v26, s[0:1]
	v_lshlrev_b64 v[26:27], 1, v[2:3]
	v_fma_mixlo_f16 v19, -v12, v22, v19 op_sel_hi:[0,0,1]
	v_mov_b32_e32 v22, s28
	v_add_co_u32_e32 v26, vcc, s26, v26
	v_addc_co_u32_e32 v27, vcc, v22, v27, vcc
	global_store_short v[26:27], v19, off
	s_or_b64 exec, exec, s[24:25]
	s_and_saveexec_b64 s[24:25], s[8:9]
	s_cbranch_execz .LBB6_29
.LBB6_33:                               ;   in Loop: Header=BB6_11 Depth=1
	v_cndmask_b32_e64 v19, v23, -v23, s[14:15]
	v_fma_mix_f32 v22, v13, v20, v19 op_sel_hi:[0,1,0]
	v_cndmask_b32_e64 v19, v19, v22, s[0:1]
	v_lshlrev_b64 v[22:23], 1, v[4:5]
	v_fma_mixlo_f16 v19, -v12, v19, v20 op_sel_hi:[0,0,1]
	v_mov_b32_e32 v20, s28
	v_add_co_u32_e32 v22, vcc, s26, v22
	v_addc_co_u32_e32 v23, vcc, v20, v23, vcc
	global_store_short v[22:23], v19, off
	s_or_b64 exec, exec, s[24:25]
	s_and_saveexec_b64 s[24:25], s[10:11]
	s_cbranch_execz .LBB6_30
.LBB6_34:                               ;   in Loop: Header=BB6_11 Depth=1
	v_cndmask_b32_e64 v19, v24, -v24, s[14:15]
	v_fma_mix_f32 v20, v13, v18, v19 op_sel_hi:[0,1,0]
	v_cndmask_b32_e64 v19, v19, v20, s[0:1]
	v_fma_mixlo_f16 v20, -v12, v19, v18 op_sel_hi:[0,0,1]
	v_lshlrev_b64 v[18:19], 1, v[6:7]
	v_mov_b32_e32 v22, s28
	v_add_co_u32_e32 v18, vcc, s26, v18
	v_addc_co_u32_e32 v19, vcc, v22, v19, vcc
	global_store_short v[18:19], v20, off
	s_or_b64 exec, exec, s[24:25]
	s_and_saveexec_b64 s[24:25], s[12:13]
	s_cbranch_execz .LBB6_31
.LBB6_35:                               ;   in Loop: Header=BB6_11 Depth=1
	v_cndmask_b32_e64 v18, v25, -v25, s[14:15]
	v_fma_mix_f32 v19, v13, v21, v18 op_sel_hi:[0,1,0]
	v_cndmask_b32_e64 v18, v18, v19, s[0:1]
	v_fma_mixlo_f16 v20, -v12, v18, v21 op_sel_hi:[0,0,1]
	v_lshlrev_b64 v[18:19], 1, v[8:9]
	v_mov_b32_e32 v21, s28
	v_add_co_u32_e32 v18, vcc, s26, v18
	v_addc_co_u32_e32 v19, vcc, v21, v19, vcc
	global_store_short v[18:19], v20, off
	s_or_b64 exec, exec, s[24:25]
	s_and_b64 vcc, exec, s[2:3]
	s_cbranch_vccnz .LBB6_10
.LBB6_36:                               ;   in Loop: Header=BB6_11 Depth=1
	s_and_saveexec_b64 s[24:25], s[6:7]
	s_cbranch_execnz .LBB6_40
; %bb.37:                               ;   in Loop: Header=BB6_11 Depth=1
	s_or_b64 exec, exec, s[24:25]
	s_and_saveexec_b64 s[6:7], s[8:9]
	s_cbranch_execnz .LBB6_41
.LBB6_38:                               ;   in Loop: Header=BB6_11 Depth=1
	s_or_b64 exec, exec, s[6:7]
	s_and_saveexec_b64 s[6:7], s[10:11]
	s_cbranch_execnz .LBB6_42
.LBB6_39:                               ;   in Loop: Header=BB6_11 Depth=1
	s_or_b64 exec, exec, s[6:7]
	s_and_saveexec_b64 s[6:7], s[12:13]
	s_cbranch_execz .LBB6_9
	s_branch .LBB6_43
.LBB6_40:                               ;   in Loop: Header=BB6_11 Depth=1
	v_lshlrev_b64 v[2:3], 1, v[2:3]
	v_mov_b32_e32 v18, s29
	v_add_co_u32_e32 v2, vcc, s27, v2
	v_addc_co_u32_e32 v3, vcc, v18, v3, vcc
	global_store_short v[2:3], v14, off
	s_or_b64 exec, exec, s[24:25]
	s_and_saveexec_b64 s[6:7], s[8:9]
	s_cbranch_execz .LBB6_38
.LBB6_41:                               ;   in Loop: Header=BB6_11 Depth=1
	v_lshlrev_b64 v[2:3], 1, v[4:5]
	v_mov_b32_e32 v4, s29
	v_add_co_u32_e32 v2, vcc, s27, v2
	v_addc_co_u32_e32 v3, vcc, v4, v3, vcc
	global_store_short v[2:3], v15, off
	s_or_b64 exec, exec, s[6:7]
	s_and_saveexec_b64 s[6:7], s[10:11]
	s_cbranch_execz .LBB6_39
.LBB6_42:                               ;   in Loop: Header=BB6_11 Depth=1
	v_lshlrev_b64 v[2:3], 1, v[6:7]
	v_mov_b32_e32 v4, s29
	v_add_co_u32_e32 v2, vcc, s27, v2
	v_addc_co_u32_e32 v3, vcc, v4, v3, vcc
	global_store_short v[2:3], v16, off
	s_or_b64 exec, exec, s[6:7]
	s_and_saveexec_b64 s[6:7], s[12:13]
	s_cbranch_execz .LBB6_9
.LBB6_43:                               ;   in Loop: Header=BB6_11 Depth=1
	v_lshlrev_b64 v[2:3], 1, v[8:9]
	v_mov_b32_e32 v4, s29
	v_add_co_u32_e32 v2, vcc, s27, v2
	v_addc_co_u32_e32 v3, vcc, v4, v3, vcc
	global_store_short v[2:3], v17, off
	s_branch .LBB6_9
.LBB6_44:
	s_mov_b64 s[0:1], 0
.LBB6_45:
	s_andn2_b64 vcc, exec, s[0:1]
	s_cbranch_vccnz .LBB6_59
; %bb.46:
	v_mov_b32_e32 v3, 0
	v_lshlrev_b32_e32 v2, 2, v0
	v_cmp_gt_i64_e32 vcc, s[18:19], v[2:3]
	s_and_saveexec_b64 s[0:1], vcc
	s_cbranch_execz .LBB6_59
; %bb.47:
	s_load_dword s4, s[4:5], 0xc9c
	s_cmp_lg_u64 s[16:17], 0
	s_cselect_b64 s[2:3], -1, 0
	v_cndmask_b32_e64 v2, 0, 1, s[2:3]
	v_mov_b32_e32 v1, v3
	s_mov_b64 s[6:7], 0
	v_cmp_neq_f32_e64 s[0:1], 0, v13
	s_waitcnt lgkmcnt(0)
	s_and_b32 s8, s4, 0xffff
	v_mov_b32_e32 v14, s28
	v_mov_b32_e32 v15, s29
	v_cmp_ne_u32_e64 s[2:3], 1, v2
	s_mov_b32 s9, 0x5040100
	s_movk_i32 s10, 0x3fff
	s_branch .LBB6_49
.LBB6_48:                               ;   in Loop: Header=BB6_49 Depth=1
	v_add_u32_e32 v2, s8, v0
	v_lshlrev_b64 v[0:1], 2, v[2:3]
	v_cmp_le_u64_e32 vcc, s[18:19], v[0:1]
	v_cmp_lt_u32_e64 s[4:5], s10, v2
	s_or_b64 s[4:5], s[4:5], vcc
	s_and_b64 s[4:5], exec, s[4:5]
	s_or_b64 s[6:7], s[4:5], s[6:7]
	v_pk_mov_b32 v[0:1], v[2:3], v[2:3] op_sel:[0,1]
	s_andn2_b64 exec, exec, s[6:7]
	s_cbranch_execz .LBB6_59
.LBB6_49:                               ; =>This Inner Loop Header: Depth=1
	v_lshlrev_b64 v[6:7], 3, v[0:1]
	v_add_co_u32_e32 v4, vcc, s27, v6
	v_addc_co_u32_e32 v5, vcc, v15, v7, vcc
	global_load_dwordx2 v[10:11], v[4:5], off
	v_add_co_u32_e32 v6, vcc, s26, v6
	v_addc_co_u32_e32 v7, vcc, v14, v7, vcc
	global_load_dwordx2 v[8:9], v[6:7], off
	s_and_b64 vcc, exec, s[2:3]
	s_waitcnt vmcnt(1)
	v_cvt_f32_f16_e32 v1, v10
	s_cbranch_vccnz .LBB6_57
; %bb.50:                               ;   in Loop: Header=BB6_49 Depth=1
	global_load_dword v2, v3, s[16:17]
	s_waitcnt vmcnt(0)
	v_div_scale_f32 v16, s[4:5], v2, v2, v1
	v_rcp_f32_e32 v17, v16
	v_div_scale_f32 v18, vcc, v1, v2, v1
	v_fma_f32 v19, -v16, v17, 1.0
	v_fmac_f32_e32 v17, v19, v17
	v_mul_f32_e32 v19, v18, v17
	v_fma_f32 v20, -v16, v19, v18
	v_fmac_f32_e32 v19, v20, v17
	v_fma_f32 v16, -v16, v19, v18
	v_div_fmas_f32 v16, v16, v17, v19
	v_div_fixup_f32 v1, v16, v2, v1
	v_cvt_f16_f32_e32 v2, v1
	v_lshrrev_b32_e32 v10, 16, v10
	v_cvt_f32_f16_e32 v16, v10
	s_and_b64 vcc, exec, s[2:3]
	s_cbranch_vccnz .LBB6_52
.LBB6_51:                               ;   in Loop: Header=BB6_49 Depth=1
	global_load_dword v10, v3, s[16:17]
	s_waitcnt vmcnt(0)
	v_div_scale_f32 v17, s[4:5], v10, v10, v16
	v_rcp_f32_e32 v18, v17
	v_div_scale_f32 v19, vcc, v16, v10, v16
	v_fma_f32 v20, -v17, v18, 1.0
	v_fmac_f32_e32 v18, v20, v18
	v_mul_f32_e32 v20, v19, v18
	v_fma_f32 v21, -v17, v20, v19
	v_fmac_f32_e32 v20, v21, v18
	v_fma_f32 v17, -v17, v20, v19
	v_div_fmas_f32 v17, v17, v18, v20
	v_div_fixup_f32 v16, v17, v10, v16
	v_cvt_f16_f32_e32 v10, v16
.LBB6_52:                               ;   in Loop: Header=BB6_49 Depth=1
	v_cvt_f32_f16_e32 v18, v11
	s_and_b64 vcc, exec, s[2:3]
	s_cbranch_vccnz .LBB6_58
; %bb.53:                               ;   in Loop: Header=BB6_49 Depth=1
	global_load_dword v17, v3, s[16:17]
	s_waitcnt vmcnt(0)
	v_div_scale_f32 v19, s[4:5], v17, v17, v18
	v_rcp_f32_e32 v20, v19
	v_div_scale_f32 v21, vcc, v18, v17, v18
	v_fma_f32 v22, -v19, v20, 1.0
	v_fmac_f32_e32 v20, v22, v20
	v_mul_f32_e32 v22, v21, v20
	v_fma_f32 v23, -v19, v22, v21
	v_fmac_f32_e32 v22, v23, v20
	v_fma_f32 v19, -v19, v22, v21
	v_div_fmas_f32 v19, v19, v20, v22
	v_div_fixup_f32 v18, v19, v17, v18
	v_cvt_f16_f32_e32 v17, v18
	v_lshrrev_b32_e32 v19, 16, v11
	v_cvt_f32_f16_e32 v11, v19
	s_and_b64 vcc, exec, s[2:3]
	s_cbranch_vccnz .LBB6_55
.LBB6_54:                               ;   in Loop: Header=BB6_49 Depth=1
	global_load_dword v19, v3, s[16:17]
	s_waitcnt vmcnt(0)
	v_div_scale_f32 v20, s[4:5], v19, v19, v11
	v_rcp_f32_e32 v21, v20
	v_div_scale_f32 v22, vcc, v11, v19, v11
	v_fma_f32 v23, -v20, v21, 1.0
	v_fmac_f32_e32 v21, v23, v21
	v_mul_f32_e32 v23, v22, v21
	v_fma_f32 v24, -v20, v23, v22
	v_fmac_f32_e32 v23, v24, v21
	v_fma_f32 v20, -v20, v23, v22
	v_div_fmas_f32 v20, v20, v21, v23
	v_div_fixup_f32 v11, v20, v19, v11
	v_cvt_f16_f32_e32 v19, v11
.LBB6_55:                               ;   in Loop: Header=BB6_49 Depth=1
	v_cndmask_b32_e64 v18, v18, -v18, s[14:15]
	s_waitcnt vmcnt(0)
	v_fma_mix_f32 v20, v13, v9, v18 op_sel_hi:[0,1,0]
	v_cndmask_b32_e64 v18, v18, v20, s[0:1]
	v_cndmask_b32_e64 v16, v16, -v16, s[14:15]
	v_fma_mixlo_f16 v21, -v12, v18, v9 op_sel_hi:[0,0,1]
	v_fma_mix_f32 v18, v13, v8, v16 op_sel:[0,1,0] op_sel_hi:[0,1,0]
	v_cndmask_b32_e64 v1, v1, -v1, s[14:15]
	v_cndmask_b32_e64 v16, v16, v18, s[0:1]
	v_fma_mix_f32 v18, v13, v8, v1 op_sel_hi:[0,1,0]
	v_cndmask_b32_e64 v1, v1, v18, s[0:1]
	v_fma_mixlo_f16 v20, -v12, v1, v8 op_sel_hi:[0,0,1]
	v_cndmask_b32_e64 v1, v11, -v11, s[14:15]
	v_fma_mix_f32 v11, v13, v9, v1 op_sel:[0,1,0] op_sel_hi:[0,1,0]
	v_cndmask_b32_e64 v1, v1, v11, s[0:1]
	v_fma_mixhi_f16 v20, -v12, v16, v8 op_sel:[0,0,1] op_sel_hi:[0,0,1]
	v_fma_mixhi_f16 v21, -v12, v1, v9 op_sel:[0,0,1] op_sel_hi:[0,0,1]
	s_and_b64 vcc, exec, s[2:3]
	global_store_dwordx2 v[6:7], v[20:21], off
	s_cbranch_vccnz .LBB6_48
; %bb.56:                               ;   in Loop: Header=BB6_49 Depth=1
	v_perm_b32 v7, v19, v17, s9
	v_perm_b32 v6, v10, v2, s9
	global_store_dwordx2 v[4:5], v[6:7], off
	s_branch .LBB6_48
.LBB6_57:                               ;   in Loop: Header=BB6_49 Depth=1
	v_mov_b32_e32 v2, v10
	v_lshrrev_b32_e32 v10, 16, v10
	v_cvt_f32_f16_e32 v16, v10
	s_and_b64 vcc, exec, s[2:3]
	s_cbranch_vccz .LBB6_51
	s_branch .LBB6_52
.LBB6_58:                               ;   in Loop: Header=BB6_49 Depth=1
	v_mov_b32_e32 v17, v11
	v_lshrrev_b32_e32 v19, 16, v11
	v_cvt_f32_f16_e32 v11, v19
	s_and_b64 vcc, exec, s[2:3]
	s_cbranch_vccz .LBB6_54
	s_branch .LBB6_55
.LBB6_59:
	s_endpgm
.LBB6_60:
                                        ; implicit-def: $sgpr1
	s_load_dword s0, s[6:7], 0x740
	v_mov_b32_e32 v12, s1
	s_branch .LBB6_5
	.section	.rodata,"a",@progbits
	.p2align	6, 0x0
	.amdhsa_kernel _ZN2at6native12_GLOBAL__N_125multi_tensor_apply_kernelINS1_18TensorListMetadataILi2EEENS1_19FusedSgdMathFunctorIN3c104HalfELi2EEEJddPfddbbbS9_S9_EEEvT_T0_DpT1_
		.amdhsa_group_segment_fixed_size 0
		.amdhsa_private_segment_fixed_size 0
		.amdhsa_kernarg_size 3472
		.amdhsa_user_sgpr_count 6
		.amdhsa_user_sgpr_private_segment_buffer 1
		.amdhsa_user_sgpr_dispatch_ptr 0
		.amdhsa_user_sgpr_queue_ptr 0
		.amdhsa_user_sgpr_kernarg_segment_ptr 1
		.amdhsa_user_sgpr_dispatch_id 0
		.amdhsa_user_sgpr_flat_scratch_init 0
		.amdhsa_user_sgpr_kernarg_preload_length 0
		.amdhsa_user_sgpr_kernarg_preload_offset 0
		.amdhsa_user_sgpr_private_segment_size 0
		.amdhsa_uses_dynamic_stack 0
		.amdhsa_system_sgpr_private_segment_wavefront_offset 0
		.amdhsa_system_sgpr_workgroup_id_x 1
		.amdhsa_system_sgpr_workgroup_id_y 0
		.amdhsa_system_sgpr_workgroup_id_z 0
		.amdhsa_system_sgpr_workgroup_info 0
		.amdhsa_system_vgpr_workitem_id 0
		.amdhsa_next_free_vgpr 30
		.amdhsa_next_free_sgpr 35
		.amdhsa_accum_offset 32
		.amdhsa_reserve_vcc 1
		.amdhsa_reserve_flat_scratch 0
		.amdhsa_float_round_mode_32 0
		.amdhsa_float_round_mode_16_64 0
		.amdhsa_float_denorm_mode_32 3
		.amdhsa_float_denorm_mode_16_64 3
		.amdhsa_dx10_clamp 1
		.amdhsa_ieee_mode 1
		.amdhsa_fp16_overflow 0
		.amdhsa_tg_split 0
		.amdhsa_exception_fp_ieee_invalid_op 0
		.amdhsa_exception_fp_denorm_src 0
		.amdhsa_exception_fp_ieee_div_zero 0
		.amdhsa_exception_fp_ieee_overflow 0
		.amdhsa_exception_fp_ieee_underflow 0
		.amdhsa_exception_fp_ieee_inexact 0
		.amdhsa_exception_int_div_zero 0
	.end_amdhsa_kernel
	.section	.text._ZN2at6native12_GLOBAL__N_125multi_tensor_apply_kernelINS1_18TensorListMetadataILi2EEENS1_19FusedSgdMathFunctorIN3c104HalfELi2EEEJddPfddbbbS9_S9_EEEvT_T0_DpT1_,"axG",@progbits,_ZN2at6native12_GLOBAL__N_125multi_tensor_apply_kernelINS1_18TensorListMetadataILi2EEENS1_19FusedSgdMathFunctorIN3c104HalfELi2EEEJddPfddbbbS9_S9_EEEvT_T0_DpT1_,comdat
.Lfunc_end6:
	.size	_ZN2at6native12_GLOBAL__N_125multi_tensor_apply_kernelINS1_18TensorListMetadataILi2EEENS1_19FusedSgdMathFunctorIN3c104HalfELi2EEEJddPfddbbbS9_S9_EEEvT_T0_DpT1_, .Lfunc_end6-_ZN2at6native12_GLOBAL__N_125multi_tensor_apply_kernelINS1_18TensorListMetadataILi2EEENS1_19FusedSgdMathFunctorIN3c104HalfELi2EEEJddPfddbbbS9_S9_EEEvT_T0_DpT1_
                                        ; -- End function
	.section	.AMDGPU.csdata,"",@progbits
; Kernel info:
; codeLenInByte = 2636
; NumSgprs: 39
; NumVgprs: 30
; NumAgprs: 0
; TotalNumVgprs: 30
; ScratchSize: 0
; MemoryBound: 0
; FloatMode: 240
; IeeeMode: 1
; LDSByteSize: 0 bytes/workgroup (compile time only)
; SGPRBlocks: 4
; VGPRBlocks: 3
; NumSGPRsForWavesPerEU: 39
; NumVGPRsForWavesPerEU: 30
; AccumOffset: 32
; Occupancy: 8
; WaveLimiterHint : 0
; COMPUTE_PGM_RSRC2:SCRATCH_EN: 0
; COMPUTE_PGM_RSRC2:USER_SGPR: 6
; COMPUTE_PGM_RSRC2:TRAP_HANDLER: 0
; COMPUTE_PGM_RSRC2:TGID_X_EN: 1
; COMPUTE_PGM_RSRC2:TGID_Y_EN: 0
; COMPUTE_PGM_RSRC2:TGID_Z_EN: 0
; COMPUTE_PGM_RSRC2:TIDIG_COMP_CNT: 0
; COMPUTE_PGM_RSRC3_GFX90A:ACCUM_OFFSET: 7
; COMPUTE_PGM_RSRC3_GFX90A:TG_SPLIT: 0
	.section	.text._ZN2at6native12_GLOBAL__N_125multi_tensor_apply_kernelINS1_18TensorListMetadataILi2EEENS1_19FusedSgdMathFunctorIN3c108BFloat16ELi2EEEJddPfddbbbS9_S9_EEEvT_T0_DpT1_,"axG",@progbits,_ZN2at6native12_GLOBAL__N_125multi_tensor_apply_kernelINS1_18TensorListMetadataILi2EEENS1_19FusedSgdMathFunctorIN3c108BFloat16ELi2EEEJddPfddbbbS9_S9_EEEvT_T0_DpT1_,comdat
	.globl	_ZN2at6native12_GLOBAL__N_125multi_tensor_apply_kernelINS1_18TensorListMetadataILi2EEENS1_19FusedSgdMathFunctorIN3c108BFloat16ELi2EEEJddPfddbbbS9_S9_EEEvT_T0_DpT1_ ; -- Begin function _ZN2at6native12_GLOBAL__N_125multi_tensor_apply_kernelINS1_18TensorListMetadataILi2EEENS1_19FusedSgdMathFunctorIN3c108BFloat16ELi2EEEJddPfddbbbS9_S9_EEEvT_T0_DpT1_
	.p2align	8
	.type	_ZN2at6native12_GLOBAL__N_125multi_tensor_apply_kernelINS1_18TensorListMetadataILi2EEENS1_19FusedSgdMathFunctorIN3c108BFloat16ELi2EEEJddPfddbbbS9_S9_EEEvT_T0_DpT1_,@function
_ZN2at6native12_GLOBAL__N_125multi_tensor_apply_kernelINS1_18TensorListMetadataILi2EEENS1_19FusedSgdMathFunctorIN3c108BFloat16ELi2EEEJddPfddbbbS9_S9_EEEvT_T0_DpT1_: ; @_ZN2at6native12_GLOBAL__N_125multi_tensor_apply_kernelINS1_18TensorListMetadataILi2EEENS1_19FusedSgdMathFunctorIN3c108BFloat16ELi2EEEJddPfddbbbS9_S9_EEEvT_T0_DpT1_
; %bb.0:
	s_load_dwordx4 s[16:19], s[4:5], 0xc80
	s_waitcnt lgkmcnt(0)
	s_cmp_eq_u64 s[18:19], 0
	s_cselect_b64 s[0:1], -1, 0
	s_and_b64 vcc, exec, s[0:1]
	s_cbranch_vccnz .LBB7_2
; %bb.1:
	s_load_dword s0, s[18:19], 0x0
	s_waitcnt lgkmcnt(0)
	v_cmp_neq_f32_e64 s[0:1], s0, 1.0
.LBB7_2:
	s_andn2_b64 vcc, exec, s[0:1]
	s_cbranch_vccnz .LBB7_67
; %bb.3:
	v_mov_b32_e32 v1, s6
	global_load_ubyte v1, v1, s[4:5] offset:1536
	s_load_dwordx4 s[0:3], s[4:5], 0xc60
	s_add_u32 s7, s4, s6
	s_mul_hi_u32 s8, s6, 3
	s_mul_i32 s6, s6, 3
	s_addc_u32 s9, s5, 0
	s_add_u32 s6, s7, s6
	s_addc_u32 s7, s9, s8
	s_waitcnt lgkmcnt(0)
	s_cmp_eq_u64 s[0:1], 0
	s_mov_b64 s[8:9], 0
	s_waitcnt vmcnt(0)
	v_readfirstlane_b32 s10, v1
	s_cbranch_scc1 .LBB7_68
; %bb.4:
	s_load_dword s1, s[0:1], 0x0
	s_nop 0
	s_load_dword s0, s[6:7], 0x740
	s_andn2_b64 vcc, exec, s[8:9]
	s_waitcnt lgkmcnt(0)
	v_mov_b32_e32 v12, s1
	s_cbranch_vccnz .LBB7_6
.LBB7_5:
	v_cvt_f32_f64_e32 v12, s[2:3]
.LBB7_6:
	s_load_dword s1, s[4:5], 0xc78
	s_load_dwordx2 s[2:3], s[4:5], 0xc50
	s_waitcnt lgkmcnt(0)
	s_bitcmp1_b32 s1, 8
	s_cselect_b64 s[14:15], -1, 0
	s_and_b32 s6, s10, 0xff
	s_lshl_b32 s12, s6, 3
	s_load_dwordx2 s[6:7], s[4:5], s12 offset:0x400
	s_ashr_i32 s1, s0, 31
	v_cvt_f32_f64_e32 v13, s[2:3]
	s_load_dwordx2 s[2:3], s[4:5], s12 offset:0x0
	s_load_dwordx2 s[10:11], s[4:5], s12 offset:0x200
	s_lshl_b64 s[8:9], s[0:1], 16
	s_waitcnt lgkmcnt(0)
	s_sub_u32 s18, s6, s8
	s_subb_u32 s19, s7, s9
	s_lshl_b64 s[0:1], s[0:1], 17
	s_add_u32 s26, s2, s0
	s_addc_u32 s28, s3, s1
	s_and_b32 s2, s26, 7
	s_mov_b32 s3, 0
	s_add_u32 s27, s10, s0
	s_addc_u32 s29, s11, s1
	s_and_b32 s0, s27, 7
	s_mov_b32 s1, s3
	s_and_b32 s6, s6, 3
	s_mov_b32 s7, s3
	s_or_b64 s[0:1], s[6:7], s[0:1]
	s_or_b64 s[0:1], s[0:1], s[2:3]
	s_cmp_eq_u64 s[0:1], 0
	s_mov_b64 s[0:1], -1
	s_cbranch_scc1 .LBB7_53
; %bb.7:
	v_cmp_lt_i64_e64 s[0:1], s[18:19], 1
	s_and_b64 vcc, exec, s[0:1]
	s_cbranch_vccnz .LBB7_52
; %bb.8:
	s_load_dword s2, s[4:5], 0xc9c
	v_mov_b32_e32 v2, 0x10000
	v_mov_b32_e32 v3, 0
	v_cmp_lt_i64_e32 vcc, s[18:19], v[2:3]
	s_and_b64 s[0:1], vcc, exec
	s_cselect_b32 s21, s19, 0
	s_cselect_b32 s20, s18, 0x10000
	s_waitcnt lgkmcnt(0)
	s_and_b32 s30, s2, 0xffff
	s_lshl_b32 s31, s30, 1
	s_cmp_lg_u64 s[16:17], 0
	s_cselect_b64 s[2:3], -1, 0
	s_mov_b32 s6, 0
	v_cndmask_b32_e64 v2, 0, 1, s[2:3]
	s_mul_i32 s33, s30, 3
	s_mov_b64 s[22:23], 0
	v_cmp_neq_f32_e64 s[0:1], 0, v13
	s_lshl_b32 s34, s30, 2
	v_mov_b32_e32 v1, s6
	v_mov_b32_e32 v10, s6
	;; [unrolled: 1-line block ×3, first 2 shown]
	s_movk_i32 s35, 0x7fff
	v_cmp_ne_u32_e64 s[2:3], 1, v2
	v_mov_b32_e32 v14, 0x7fc0
	s_branch .LBB7_11
.LBB7_9:                                ;   in Loop: Header=BB7_11 Depth=1
	s_or_b64 exec, exec, s[6:7]
.LBB7_10:                               ;   in Loop: Header=BB7_11 Depth=1
	s_add_i32 s22, s22, s34
	s_ashr_i32 s23, s22, 31
	v_pk_mov_b32 v[2:3], s[20:21], s[20:21] op_sel:[0,1]
	v_cmp_lt_i64_e32 vcc, s[22:23], v[2:3]
	s_cbranch_vccz .LBB7_52
.LBB7_11:                               ; =>This Inner Loop Header: Depth=1
	v_mov_b32_e32 v3, s23
	v_add_co_u32_e32 v2, vcc, s22, v0
	v_addc_co_u32_e32 v3, vcc, 0, v3, vcc
	v_cmp_gt_i64_e64 s[6:7], s[20:21], v[2:3]
	v_mov_b32_e32 v19, 0
	s_and_saveexec_b64 s[8:9], s[6:7]
	s_cbranch_execz .LBB7_13
; %bb.12:                               ;   in Loop: Header=BB7_11 Depth=1
	v_lshlrev_b64 v[4:5], 1, v[2:3]
	v_mov_b32_e32 v6, s28
	v_add_co_u32_e32 v4, vcc, s26, v4
	v_addc_co_u32_e32 v5, vcc, v6, v5, vcc
	global_load_ushort v19, v[4:5], off
.LBB7_13:                               ;   in Loop: Header=BB7_11 Depth=1
	s_or_b64 exec, exec, s[8:9]
	v_mov_b32_e32 v15, 0
	s_and_saveexec_b64 s[8:9], s[6:7]
	s_cbranch_execz .LBB7_15
; %bb.14:                               ;   in Loop: Header=BB7_11 Depth=1
	v_lshlrev_b64 v[4:5], 1, v[2:3]
	v_mov_b32_e32 v6, s29
	v_add_co_u32_e32 v4, vcc, s27, v4
	v_addc_co_u32_e32 v5, vcc, v6, v5, vcc
	global_load_ushort v15, v[4:5], off
.LBB7_15:                               ;   in Loop: Header=BB7_11 Depth=1
	s_or_b64 exec, exec, s[8:9]
	v_add_co_u32_e32 v4, vcc, s30, v2
	v_addc_co_u32_e32 v5, vcc, v3, v1, vcc
	v_cmp_gt_i64_e64 s[8:9], s[20:21], v[4:5]
	v_mov_b32_e32 v16, 0
	v_mov_b32_e32 v20, 0
	s_and_saveexec_b64 s[10:11], s[8:9]
	s_cbranch_execz .LBB7_17
; %bb.16:                               ;   in Loop: Header=BB7_11 Depth=1
	v_lshlrev_b64 v[6:7], 1, v[4:5]
	v_mov_b32_e32 v8, s28
	v_add_co_u32_e32 v6, vcc, s26, v6
	v_addc_co_u32_e32 v7, vcc, v8, v7, vcc
	global_load_ushort v20, v[6:7], off
.LBB7_17:                               ;   in Loop: Header=BB7_11 Depth=1
	s_or_b64 exec, exec, s[10:11]
	s_and_saveexec_b64 s[10:11], s[8:9]
	s_cbranch_execz .LBB7_19
; %bb.18:                               ;   in Loop: Header=BB7_11 Depth=1
	v_lshlrev_b64 v[6:7], 1, v[4:5]
	v_mov_b32_e32 v8, s29
	v_add_co_u32_e32 v6, vcc, s27, v6
	v_addc_co_u32_e32 v7, vcc, v8, v7, vcc
	global_load_ushort v16, v[6:7], off
.LBB7_19:                               ;   in Loop: Header=BB7_11 Depth=1
	s_or_b64 exec, exec, s[10:11]
	v_add_co_u32_e32 v6, vcc, s31, v2
	v_addc_co_u32_e32 v7, vcc, v3, v10, vcc
	v_cmp_gt_i64_e64 s[10:11], s[20:21], v[6:7]
	v_mov_b32_e32 v17, 0
	v_mov_b32_e32 v21, 0
	s_and_saveexec_b64 s[12:13], s[10:11]
	s_cbranch_execz .LBB7_21
; %bb.20:                               ;   in Loop: Header=BB7_11 Depth=1
	v_lshlrev_b64 v[8:9], 1, v[6:7]
	v_mov_b32_e32 v18, s28
	v_add_co_u32_e32 v8, vcc, s26, v8
	v_addc_co_u32_e32 v9, vcc, v18, v9, vcc
	global_load_ushort v21, v[8:9], off
.LBB7_21:                               ;   in Loop: Header=BB7_11 Depth=1
	s_or_b64 exec, exec, s[12:13]
	s_and_saveexec_b64 s[12:13], s[10:11]
	s_cbranch_execz .LBB7_23
; %bb.22:                               ;   in Loop: Header=BB7_11 Depth=1
	v_lshlrev_b64 v[8:9], 1, v[6:7]
	v_mov_b32_e32 v17, s29
	v_add_co_u32_e32 v8, vcc, s27, v8
	v_addc_co_u32_e32 v9, vcc, v17, v9, vcc
	global_load_ushort v17, v[8:9], off
.LBB7_23:                               ;   in Loop: Header=BB7_11 Depth=1
	s_or_b64 exec, exec, s[12:13]
	v_add_co_u32_e32 v8, vcc, s33, v2
	v_addc_co_u32_e32 v9, vcc, v3, v11, vcc
	v_cmp_gt_i64_e64 s[12:13], s[20:21], v[8:9]
	v_mov_b32_e32 v18, 0
	v_mov_b32_e32 v22, 0
	s_and_saveexec_b64 s[24:25], s[12:13]
	s_cbranch_execnz .LBB7_38
; %bb.24:                               ;   in Loop: Header=BB7_11 Depth=1
	s_or_b64 exec, exec, s[24:25]
	s_and_saveexec_b64 s[24:25], s[12:13]
	s_cbranch_execnz .LBB7_39
.LBB7_25:                               ;   in Loop: Header=BB7_11 Depth=1
	s_or_b64 exec, exec, s[24:25]
	s_and_b64 vcc, exec, s[2:3]
	s_waitcnt vmcnt(0)
	v_lshlrev_b32_e32 v23, 16, v15
	s_cbranch_vccnz .LBB7_27
.LBB7_26:                               ;   in Loop: Header=BB7_11 Depth=1
	s_load_dword s23, s[16:17], 0x0
	s_waitcnt lgkmcnt(0)
	v_div_scale_f32 v15, s[24:25], s23, s23, v23
	v_rcp_f32_e32 v24, v15
	v_div_scale_f32 v25, vcc, v23, s23, v23
	v_fma_f32 v26, -v15, v24, 1.0
	v_fmac_f32_e32 v24, v26, v24
	v_mul_f32_e32 v26, v25, v24
	v_fma_f32 v27, -v15, v26, v25
	v_fmac_f32_e32 v26, v27, v24
	v_fma_f32 v15, -v15, v26, v25
	v_div_fmas_f32 v15, v15, v24, v26
	v_div_fixup_f32 v23, v15, s23, v23
	v_bfe_u32 v15, v23, 16, 1
	v_add3_u32 v15, v23, v15, s35
	v_lshrrev_b32_e32 v15, 16, v15
	v_cmp_o_f32_e32 vcc, v23, v23
	v_cndmask_b32_e32 v15, v14, v15, vcc
.LBB7_27:                               ;   in Loop: Header=BB7_11 Depth=1
	s_and_b64 vcc, exec, s[2:3]
	v_lshlrev_b32_e32 v24, 16, v16
	s_cbranch_vccnz .LBB7_29
; %bb.28:                               ;   in Loop: Header=BB7_11 Depth=1
	s_load_dword s23, s[16:17], 0x0
	s_waitcnt lgkmcnt(0)
	v_div_scale_f32 v16, s[24:25], s23, s23, v24
	v_rcp_f32_e32 v25, v16
	v_div_scale_f32 v26, vcc, v24, s23, v24
	v_fma_f32 v27, -v16, v25, 1.0
	v_fmac_f32_e32 v25, v27, v25
	v_mul_f32_e32 v27, v26, v25
	v_fma_f32 v28, -v16, v27, v26
	v_fmac_f32_e32 v27, v28, v25
	v_fma_f32 v16, -v16, v27, v26
	v_div_fmas_f32 v16, v16, v25, v27
	v_div_fixup_f32 v24, v16, s23, v24
	v_bfe_u32 v16, v24, 16, 1
	v_add3_u32 v16, v24, v16, s35
	v_lshrrev_b32_e32 v16, 16, v16
	v_cmp_o_f32_e32 vcc, v24, v24
	v_cndmask_b32_e32 v16, v14, v16, vcc
.LBB7_29:                               ;   in Loop: Header=BB7_11 Depth=1
	s_and_b64 vcc, exec, s[2:3]
	v_lshlrev_b32_e32 v25, 16, v17
	s_cbranch_vccnz .LBB7_31
; %bb.30:                               ;   in Loop: Header=BB7_11 Depth=1
	s_load_dword s23, s[16:17], 0x0
	s_waitcnt lgkmcnt(0)
	v_div_scale_f32 v17, s[24:25], s23, s23, v25
	v_rcp_f32_e32 v26, v17
	v_div_scale_f32 v27, vcc, v25, s23, v25
	v_fma_f32 v28, -v17, v26, 1.0
	v_fmac_f32_e32 v26, v28, v26
	v_mul_f32_e32 v28, v27, v26
	v_fma_f32 v29, -v17, v28, v27
	v_fmac_f32_e32 v28, v29, v26
	v_fma_f32 v17, -v17, v28, v27
	v_div_fmas_f32 v17, v17, v26, v28
	v_div_fixup_f32 v25, v17, s23, v25
	v_bfe_u32 v17, v25, 16, 1
	v_add3_u32 v17, v25, v17, s35
	v_lshrrev_b32_e32 v17, 16, v17
	v_cmp_o_f32_e32 vcc, v25, v25
	v_cndmask_b32_e32 v17, v14, v17, vcc
.LBB7_31:                               ;   in Loop: Header=BB7_11 Depth=1
	s_and_b64 vcc, exec, s[2:3]
	s_waitcnt vmcnt(0)
	v_lshlrev_b32_e32 v26, 16, v18
	s_cbranch_vccnz .LBB7_33
; %bb.32:                               ;   in Loop: Header=BB7_11 Depth=1
	s_load_dword s23, s[16:17], 0x0
	s_waitcnt lgkmcnt(0)
	v_div_scale_f32 v18, s[24:25], s23, s23, v26
	v_rcp_f32_e32 v27, v18
	v_div_scale_f32 v28, vcc, v26, s23, v26
	v_fma_f32 v29, -v18, v27, 1.0
	v_fmac_f32_e32 v27, v29, v27
	v_mul_f32_e32 v29, v28, v27
	v_fma_f32 v30, -v18, v29, v28
	v_fmac_f32_e32 v29, v30, v27
	v_fma_f32 v18, -v18, v29, v28
	v_div_fmas_f32 v18, v18, v27, v29
	v_div_fixup_f32 v26, v18, s23, v26
	v_bfe_u32 v18, v26, 16, 1
	v_add3_u32 v18, v26, v18, s35
	v_lshrrev_b32_e32 v18, 16, v18
	v_cmp_o_f32_e32 vcc, v26, v26
	v_cndmask_b32_e32 v18, v14, v18, vcc
.LBB7_33:                               ;   in Loop: Header=BB7_11 Depth=1
	s_and_saveexec_b64 s[24:25], s[6:7]
	s_cbranch_execnz .LBB7_40
; %bb.34:                               ;   in Loop: Header=BB7_11 Depth=1
	s_or_b64 exec, exec, s[24:25]
	s_and_saveexec_b64 s[24:25], s[8:9]
	s_cbranch_execnz .LBB7_41
.LBB7_35:                               ;   in Loop: Header=BB7_11 Depth=1
	s_or_b64 exec, exec, s[24:25]
	s_and_saveexec_b64 s[24:25], s[10:11]
	s_cbranch_execnz .LBB7_42
.LBB7_36:                               ;   in Loop: Header=BB7_11 Depth=1
	s_or_b64 exec, exec, s[24:25]
	s_and_saveexec_b64 s[24:25], s[12:13]
	s_cbranch_execnz .LBB7_43
.LBB7_37:                               ;   in Loop: Header=BB7_11 Depth=1
	s_or_b64 exec, exec, s[24:25]
	s_and_b64 vcc, exec, s[2:3]
	s_cbranch_vccz .LBB7_44
	s_branch .LBB7_10
.LBB7_38:                               ;   in Loop: Header=BB7_11 Depth=1
	v_lshlrev_b64 v[22:23], 1, v[8:9]
	v_mov_b32_e32 v24, s28
	v_add_co_u32_e32 v22, vcc, s26, v22
	v_addc_co_u32_e32 v23, vcc, v24, v23, vcc
	global_load_ushort v22, v[22:23], off
	s_or_b64 exec, exec, s[24:25]
	s_and_saveexec_b64 s[24:25], s[12:13]
	s_cbranch_execz .LBB7_25
.LBB7_39:                               ;   in Loop: Header=BB7_11 Depth=1
	v_lshlrev_b64 v[24:25], 1, v[8:9]
	v_mov_b32_e32 v18, s29
	v_add_co_u32_e32 v24, vcc, s27, v24
	v_addc_co_u32_e32 v25, vcc, v18, v25, vcc
	global_load_ushort v18, v[24:25], off
	s_or_b64 exec, exec, s[24:25]
	s_and_b64 vcc, exec, s[2:3]
	s_waitcnt vmcnt(1)
	v_lshlrev_b32_e32 v23, 16, v15
	s_cbranch_vccz .LBB7_26
	s_branch .LBB7_27
.LBB7_40:                               ;   in Loop: Header=BB7_11 Depth=1
	v_lshlrev_b32_e32 v19, 16, v19
	v_cndmask_b32_e64 v23, v23, -v23, s[14:15]
	v_fma_f32 v27, v13, v19, v23
	v_cndmask_b32_e64 v23, v23, v27, s[0:1]
	v_fma_f32 v19, -v12, v23, v19
	v_bfe_u32 v23, v19, 16, 1
	v_add3_u32 v23, v19, v23, s35
	v_lshrrev_b32_e32 v23, 16, v23
	v_cmp_o_f32_e32 vcc, v19, v19
	v_lshlrev_b64 v[28:29], 1, v[2:3]
	v_cndmask_b32_e32 v19, v14, v23, vcc
	v_mov_b32_e32 v23, s28
	v_add_co_u32_e32 v28, vcc, s26, v28
	v_addc_co_u32_e32 v29, vcc, v23, v29, vcc
	global_store_short v[28:29], v19, off
	s_or_b64 exec, exec, s[24:25]
	s_and_saveexec_b64 s[24:25], s[8:9]
	s_cbranch_execz .LBB7_35
.LBB7_41:                               ;   in Loop: Header=BB7_11 Depth=1
	v_lshlrev_b32_e32 v19, 16, v20
	v_cndmask_b32_e64 v20, v24, -v24, s[14:15]
	v_fma_f32 v23, v13, v19, v20
	v_cndmask_b32_e64 v20, v20, v23, s[0:1]
	v_fma_f32 v19, -v12, v20, v19
	v_bfe_u32 v20, v19, 16, 1
	v_add3_u32 v20, v19, v20, s35
	v_lshrrev_b32_e32 v20, 16, v20
	v_cmp_o_f32_e32 vcc, v19, v19
	v_lshlrev_b64 v[28:29], 1, v[4:5]
	v_cndmask_b32_e32 v19, v14, v20, vcc
	v_mov_b32_e32 v20, s28
	v_add_co_u32_e32 v28, vcc, s26, v28
	v_addc_co_u32_e32 v29, vcc, v20, v29, vcc
	global_store_short v[28:29], v19, off
	s_or_b64 exec, exec, s[24:25]
	s_and_saveexec_b64 s[24:25], s[10:11]
	s_cbranch_execz .LBB7_36
.LBB7_42:                               ;   in Loop: Header=BB7_11 Depth=1
	v_lshlrev_b32_e32 v19, 16, v21
	v_cndmask_b32_e64 v20, v25, -v25, s[14:15]
	v_fma_f32 v21, v13, v19, v20
	v_cndmask_b32_e64 v20, v20, v21, s[0:1]
	v_fma_f32 v19, -v12, v20, v19
	v_bfe_u32 v20, v19, 16, 1
	v_add3_u32 v20, v19, v20, s35
	v_lshrrev_b32_e32 v20, 16, v20
	v_cmp_o_f32_e32 vcc, v19, v19
	v_cndmask_b32_e32 v19, v14, v20, vcc
	v_lshlrev_b64 v[20:21], 1, v[6:7]
	v_mov_b32_e32 v23, s28
	v_add_co_u32_e32 v20, vcc, s26, v20
	v_addc_co_u32_e32 v21, vcc, v23, v21, vcc
	global_store_short v[20:21], v19, off
	s_or_b64 exec, exec, s[24:25]
	s_and_saveexec_b64 s[24:25], s[12:13]
	s_cbranch_execz .LBB7_37
.LBB7_43:                               ;   in Loop: Header=BB7_11 Depth=1
	v_lshlrev_b32_e32 v19, 16, v22
	v_cndmask_b32_e64 v20, v26, -v26, s[14:15]
	v_fma_f32 v21, v13, v19, v20
	v_cndmask_b32_e64 v20, v20, v21, s[0:1]
	v_fma_f32 v19, -v12, v20, v19
	v_bfe_u32 v20, v19, 16, 1
	v_add3_u32 v20, v19, v20, s35
	v_lshrrev_b32_e32 v20, 16, v20
	v_cmp_o_f32_e32 vcc, v19, v19
	v_cndmask_b32_e32 v19, v14, v20, vcc
	v_lshlrev_b64 v[20:21], 1, v[8:9]
	v_mov_b32_e32 v22, s28
	v_add_co_u32_e32 v20, vcc, s26, v20
	v_addc_co_u32_e32 v21, vcc, v22, v21, vcc
	global_store_short v[20:21], v19, off
	s_or_b64 exec, exec, s[24:25]
	s_and_b64 vcc, exec, s[2:3]
	s_cbranch_vccnz .LBB7_10
.LBB7_44:                               ;   in Loop: Header=BB7_11 Depth=1
	s_and_saveexec_b64 s[24:25], s[6:7]
	s_cbranch_execnz .LBB7_48
; %bb.45:                               ;   in Loop: Header=BB7_11 Depth=1
	s_or_b64 exec, exec, s[24:25]
	s_and_saveexec_b64 s[6:7], s[8:9]
	s_cbranch_execnz .LBB7_49
.LBB7_46:                               ;   in Loop: Header=BB7_11 Depth=1
	s_or_b64 exec, exec, s[6:7]
	s_and_saveexec_b64 s[6:7], s[10:11]
	s_cbranch_execnz .LBB7_50
.LBB7_47:                               ;   in Loop: Header=BB7_11 Depth=1
	s_or_b64 exec, exec, s[6:7]
	s_and_saveexec_b64 s[6:7], s[12:13]
	s_cbranch_execz .LBB7_9
	s_branch .LBB7_51
.LBB7_48:                               ;   in Loop: Header=BB7_11 Depth=1
	v_lshlrev_b64 v[2:3], 1, v[2:3]
	v_mov_b32_e32 v19, s29
	v_add_co_u32_e32 v2, vcc, s27, v2
	v_addc_co_u32_e32 v3, vcc, v19, v3, vcc
	global_store_short v[2:3], v15, off
	s_or_b64 exec, exec, s[24:25]
	s_and_saveexec_b64 s[6:7], s[8:9]
	s_cbranch_execz .LBB7_46
.LBB7_49:                               ;   in Loop: Header=BB7_11 Depth=1
	v_lshlrev_b64 v[2:3], 1, v[4:5]
	v_mov_b32_e32 v4, s29
	v_add_co_u32_e32 v2, vcc, s27, v2
	v_addc_co_u32_e32 v3, vcc, v4, v3, vcc
	global_store_short v[2:3], v16, off
	s_or_b64 exec, exec, s[6:7]
	s_and_saveexec_b64 s[6:7], s[10:11]
	s_cbranch_execz .LBB7_47
.LBB7_50:                               ;   in Loop: Header=BB7_11 Depth=1
	v_lshlrev_b64 v[2:3], 1, v[6:7]
	v_mov_b32_e32 v4, s29
	v_add_co_u32_e32 v2, vcc, s27, v2
	v_addc_co_u32_e32 v3, vcc, v4, v3, vcc
	global_store_short v[2:3], v17, off
	s_or_b64 exec, exec, s[6:7]
	s_and_saveexec_b64 s[6:7], s[12:13]
	s_cbranch_execz .LBB7_9
.LBB7_51:                               ;   in Loop: Header=BB7_11 Depth=1
	v_lshlrev_b64 v[2:3], 1, v[8:9]
	v_mov_b32_e32 v4, s29
	v_add_co_u32_e32 v2, vcc, s27, v2
	v_addc_co_u32_e32 v3, vcc, v4, v3, vcc
	global_store_short v[2:3], v18, off
	s_branch .LBB7_9
.LBB7_52:
	s_mov_b64 s[0:1], 0
.LBB7_53:
	s_andn2_b64 vcc, exec, s[0:1]
	s_cbranch_vccnz .LBB7_67
; %bb.54:
	v_mov_b32_e32 v3, 0
	v_lshlrev_b32_e32 v2, 2, v0
	v_cmp_gt_i64_e32 vcc, s[18:19], v[2:3]
	s_and_saveexec_b64 s[0:1], vcc
	s_cbranch_execz .LBB7_67
; %bb.55:
	s_load_dword s4, s[4:5], 0xc9c
	s_cmp_lg_u64 s[16:17], 0
	s_cselect_b64 s[2:3], -1, 0
	v_cndmask_b32_e64 v2, 0, 1, s[2:3]
	v_mov_b32_e32 v1, v3
	s_mov_b64 s[6:7], 0
	v_cmp_neq_f32_e64 s[0:1], 0, v13
	s_waitcnt lgkmcnt(0)
	s_and_b32 s8, s4, 0xffff
	v_mov_b32_e32 v14, s28
	v_mov_b32_e32 v15, s29
	v_cmp_ne_u32_e64 s[2:3], 1, v2
	s_movk_i32 s9, 0x7fff
	s_movk_i32 s10, 0x3fff
	v_mov_b32_e32 v16, 0x7fc0
	v_mov_b32_e32 v17, 0x7fc00000
	s_branch .LBB7_57
.LBB7_56:                               ;   in Loop: Header=BB7_57 Depth=1
	v_add_u32_e32 v2, s8, v0
	v_lshlrev_b64 v[0:1], 2, v[2:3]
	v_cmp_le_u64_e32 vcc, s[18:19], v[0:1]
	v_cmp_lt_u32_e64 s[4:5], s10, v2
	s_or_b64 s[4:5], s[4:5], vcc
	s_and_b64 s[4:5], exec, s[4:5]
	s_or_b64 s[6:7], s[4:5], s[6:7]
	v_pk_mov_b32 v[0:1], v[2:3], v[2:3] op_sel:[0,1]
	s_andn2_b64 exec, exec, s[6:7]
	s_cbranch_execz .LBB7_67
.LBB7_57:                               ; =>This Inner Loop Header: Depth=1
	v_lshlrev_b64 v[6:7], 3, v[0:1]
	v_add_co_u32_e32 v4, vcc, s26, v6
	v_addc_co_u32_e32 v5, vcc, v14, v7, vcc
	v_add_co_u32_e32 v6, vcc, s27, v6
	v_addc_co_u32_e32 v7, vcc, v15, v7, vcc
	global_load_dwordx2 v[8:9], v[6:7], off
	global_load_dwordx2 v[10:11], v[4:5], off
	s_and_b64 vcc, exec, s[2:3]
	s_waitcnt vmcnt(1)
	v_lshlrev_b32_e32 v1, 16, v8
	s_cbranch_vccnz .LBB7_59
; %bb.58:                               ;   in Loop: Header=BB7_57 Depth=1
	global_load_dword v2, v3, s[16:17]
	v_and_b32_e32 v8, 0xffff0000, v8
	s_waitcnt vmcnt(0)
	v_div_scale_f32 v18, s[4:5], v2, v2, v1
	v_rcp_f32_e32 v19, v18
	v_div_scale_f32 v20, vcc, v1, v2, v1
	v_fma_f32 v21, -v18, v19, 1.0
	v_fmac_f32_e32 v19, v21, v19
	v_mul_f32_e32 v21, v20, v19
	v_fma_f32 v22, -v18, v21, v20
	v_fmac_f32_e32 v21, v22, v19
	v_fma_f32 v18, -v18, v21, v20
	v_div_fmas_f32 v18, v18, v19, v21
	v_div_fixup_f32 v1, v18, v2, v1
	v_bfe_u32 v2, v1, 16, 1
	v_add3_u32 v2, v1, v2, s9
	v_lshrrev_b32_e32 v2, 16, v2
	v_cmp_o_f32_e32 vcc, v1, v1
	v_cndmask_b32_e32 v2, v16, v2, vcc
	v_or_b32_e32 v8, v2, v8
.LBB7_59:                               ;   in Loop: Header=BB7_57 Depth=1
	s_and_b64 vcc, exec, s[2:3]
	v_and_b32_e32 v2, 0xffff0000, v8
	s_cbranch_vccnz .LBB7_61
; %bb.60:                               ;   in Loop: Header=BB7_57 Depth=1
	global_load_dword v18, v3, s[16:17]
	v_and_b32_e32 v8, 0xffff, v8
	s_waitcnt vmcnt(0)
	v_div_scale_f32 v19, s[4:5], v18, v18, v2
	v_rcp_f32_e32 v20, v19
	v_div_scale_f32 v21, vcc, v2, v18, v2
	v_fma_f32 v22, -v19, v20, 1.0
	v_fmac_f32_e32 v20, v22, v20
	v_mul_f32_e32 v22, v21, v20
	v_fma_f32 v23, -v19, v22, v21
	v_fmac_f32_e32 v22, v23, v20
	v_fma_f32 v19, -v19, v22, v21
	v_div_fmas_f32 v19, v19, v20, v22
	v_div_fixup_f32 v2, v19, v18, v2
	v_bfe_u32 v18, v2, 16, 1
	v_add3_u32 v18, v2, v18, s9
	v_and_b32_e32 v18, 0xffff0000, v18
	v_cmp_o_f32_e32 vcc, v2, v2
	v_cndmask_b32_e32 v18, v17, v18, vcc
	v_or_b32_e32 v8, v18, v8
.LBB7_61:                               ;   in Loop: Header=BB7_57 Depth=1
	v_alignbit_b32 v18, v9, v8, 16
	s_and_b64 vcc, exec, s[2:3]
	v_and_b32_e32 v18, 0xffff0000, v18
	s_cbranch_vccnz .LBB7_63
; %bb.62:                               ;   in Loop: Header=BB7_57 Depth=1
	global_load_dword v19, v3, s[16:17]
	v_and_b32_e32 v9, 0xffff0000, v9
	s_waitcnt vmcnt(0)
	v_div_scale_f32 v20, s[4:5], v19, v19, v18
	v_rcp_f32_e32 v21, v20
	v_div_scale_f32 v22, vcc, v18, v19, v18
	v_fma_f32 v23, -v20, v21, 1.0
	v_fmac_f32_e32 v21, v23, v21
	v_mul_f32_e32 v23, v22, v21
	v_fma_f32 v24, -v20, v23, v22
	v_fmac_f32_e32 v23, v24, v21
	v_fma_f32 v20, -v20, v23, v22
	v_div_fmas_f32 v20, v20, v21, v23
	v_div_fixup_f32 v18, v20, v19, v18
	v_bfe_u32 v19, v18, 16, 1
	v_add3_u32 v19, v18, v19, s9
	v_lshrrev_b32_e32 v19, 16, v19
	v_cmp_o_f32_e32 vcc, v18, v18
	v_cndmask_b32_e32 v19, v16, v19, vcc
	v_or_b32_e32 v9, v19, v9
.LBB7_63:                               ;   in Loop: Header=BB7_57 Depth=1
	s_and_b64 vcc, exec, s[2:3]
	v_and_b32_e32 v19, 0xffff0000, v9
	s_cbranch_vccnz .LBB7_65
; %bb.64:                               ;   in Loop: Header=BB7_57 Depth=1
	global_load_dword v20, v3, s[16:17]
	v_and_b32_e32 v9, 0xffff, v9
	s_waitcnt vmcnt(0)
	v_div_scale_f32 v21, s[4:5], v20, v20, v19
	v_rcp_f32_e32 v22, v21
	v_div_scale_f32 v23, vcc, v19, v20, v19
	v_fma_f32 v24, -v21, v22, 1.0
	v_fmac_f32_e32 v22, v24, v22
	v_mul_f32_e32 v24, v23, v22
	v_fma_f32 v25, -v21, v24, v23
	v_fmac_f32_e32 v24, v25, v22
	v_fma_f32 v21, -v21, v24, v23
	v_div_fmas_f32 v21, v21, v22, v24
	v_div_fixup_f32 v19, v21, v20, v19
	v_bfe_u32 v20, v19, 16, 1
	v_add3_u32 v20, v19, v20, s9
	v_and_b32_e32 v20, 0xffff0000, v20
	v_cmp_o_f32_e32 vcc, v19, v19
	v_cndmask_b32_e32 v20, v17, v20, vcc
	v_or_b32_e32 v9, v20, v9
.LBB7_65:                               ;   in Loop: Header=BB7_57 Depth=1
	s_waitcnt vmcnt(0)
	v_lshlrev_b32_e32 v20, 16, v10
	v_cndmask_b32_e64 v1, v1, -v1, s[14:15]
	v_fma_f32 v21, v13, v20, v1
	v_cndmask_b32_e64 v1, v1, v21, s[0:1]
	v_fma_f32 v1, -v12, v1, v20
	v_bfe_u32 v20, v1, 16, 1
	v_add3_u32 v20, v1, v20, s9
	v_lshrrev_b32_e32 v20, 16, v20
	v_cmp_o_f32_e32 vcc, v1, v1
	v_cndmask_b32_e32 v1, v16, v20, vcc
	v_and_b32_e32 v20, 0xffff0000, v10
	v_cndmask_b32_e64 v2, v2, -v2, s[14:15]
	v_fma_f32 v21, v13, v20, v2
	v_cndmask_b32_e64 v2, v2, v21, s[0:1]
	v_fma_f32 v2, -v12, v2, v20
	v_bfe_u32 v20, v2, 16, 1
	v_add3_u32 v20, v2, v20, s9
	v_and_b32_e32 v20, 0xffff0000, v20
	v_cmp_o_f32_e32 vcc, v2, v2
	v_cndmask_b32_e32 v2, v17, v20, vcc
	v_or_b32_e32 v1, v2, v1
	v_alignbit_b32 v2, v11, v10, 16
	v_and_b32_e32 v2, 0xffff0000, v2
	v_cndmask_b32_e64 v10, v18, -v18, s[14:15]
	v_fma_f32 v18, v13, v2, v10
	v_cndmask_b32_e64 v10, v10, v18, s[0:1]
	v_fma_f32 v2, -v12, v10, v2
	v_bfe_u32 v10, v2, 16, 1
	v_add3_u32 v10, v2, v10, s9
	v_lshrrev_b32_e32 v10, 16, v10
	v_cmp_o_f32_e32 vcc, v2, v2
	v_cndmask_b32_e32 v2, v16, v10, vcc
	v_and_b32_e32 v10, 0xffff0000, v11
	v_cndmask_b32_e64 v11, v19, -v19, s[14:15]
	v_fma_f32 v18, v13, v10, v11
	v_cndmask_b32_e64 v11, v11, v18, s[0:1]
	v_fma_f32 v10, -v12, v11, v10
	v_bfe_u32 v11, v10, 16, 1
	v_add3_u32 v11, v10, v11, s9
	v_and_b32_e32 v11, 0xffff0000, v11
	v_cmp_o_f32_e32 vcc, v10, v10
	v_cndmask_b32_e32 v10, v17, v11, vcc
	v_or3_b32 v11, 0, v2, v10
	v_or3_b32 v10, v1, 0, 0
	s_and_b64 vcc, exec, s[2:3]
	global_store_dwordx2 v[4:5], v[10:11], off
	s_cbranch_vccnz .LBB7_56
; %bb.66:                               ;   in Loop: Header=BB7_57 Depth=1
	global_store_dwordx2 v[6:7], v[8:9], off
	s_branch .LBB7_56
.LBB7_67:
	s_endpgm
.LBB7_68:
                                        ; implicit-def: $sgpr1
	s_load_dword s0, s[6:7], 0x740
	v_mov_b32_e32 v12, s1
	s_branch .LBB7_5
	.section	.rodata,"a",@progbits
	.p2align	6, 0x0
	.amdhsa_kernel _ZN2at6native12_GLOBAL__N_125multi_tensor_apply_kernelINS1_18TensorListMetadataILi2EEENS1_19FusedSgdMathFunctorIN3c108BFloat16ELi2EEEJddPfddbbbS9_S9_EEEvT_T0_DpT1_
		.amdhsa_group_segment_fixed_size 0
		.amdhsa_private_segment_fixed_size 0
		.amdhsa_kernarg_size 3472
		.amdhsa_user_sgpr_count 6
		.amdhsa_user_sgpr_private_segment_buffer 1
		.amdhsa_user_sgpr_dispatch_ptr 0
		.amdhsa_user_sgpr_queue_ptr 0
		.amdhsa_user_sgpr_kernarg_segment_ptr 1
		.amdhsa_user_sgpr_dispatch_id 0
		.amdhsa_user_sgpr_flat_scratch_init 0
		.amdhsa_user_sgpr_kernarg_preload_length 0
		.amdhsa_user_sgpr_kernarg_preload_offset 0
		.amdhsa_user_sgpr_private_segment_size 0
		.amdhsa_uses_dynamic_stack 0
		.amdhsa_system_sgpr_private_segment_wavefront_offset 0
		.amdhsa_system_sgpr_workgroup_id_x 1
		.amdhsa_system_sgpr_workgroup_id_y 0
		.amdhsa_system_sgpr_workgroup_id_z 0
		.amdhsa_system_sgpr_workgroup_info 0
		.amdhsa_system_vgpr_workitem_id 0
		.amdhsa_next_free_vgpr 31
		.amdhsa_next_free_sgpr 36
		.amdhsa_accum_offset 32
		.amdhsa_reserve_vcc 1
		.amdhsa_reserve_flat_scratch 0
		.amdhsa_float_round_mode_32 0
		.amdhsa_float_round_mode_16_64 0
		.amdhsa_float_denorm_mode_32 3
		.amdhsa_float_denorm_mode_16_64 3
		.amdhsa_dx10_clamp 1
		.amdhsa_ieee_mode 1
		.amdhsa_fp16_overflow 0
		.amdhsa_tg_split 0
		.amdhsa_exception_fp_ieee_invalid_op 0
		.amdhsa_exception_fp_denorm_src 0
		.amdhsa_exception_fp_ieee_div_zero 0
		.amdhsa_exception_fp_ieee_overflow 0
		.amdhsa_exception_fp_ieee_underflow 0
		.amdhsa_exception_fp_ieee_inexact 0
		.amdhsa_exception_int_div_zero 0
	.end_amdhsa_kernel
	.section	.text._ZN2at6native12_GLOBAL__N_125multi_tensor_apply_kernelINS1_18TensorListMetadataILi2EEENS1_19FusedSgdMathFunctorIN3c108BFloat16ELi2EEEJddPfddbbbS9_S9_EEEvT_T0_DpT1_,"axG",@progbits,_ZN2at6native12_GLOBAL__N_125multi_tensor_apply_kernelINS1_18TensorListMetadataILi2EEENS1_19FusedSgdMathFunctorIN3c108BFloat16ELi2EEEJddPfddbbbS9_S9_EEEvT_T0_DpT1_,comdat
.Lfunc_end7:
	.size	_ZN2at6native12_GLOBAL__N_125multi_tensor_apply_kernelINS1_18TensorListMetadataILi2EEENS1_19FusedSgdMathFunctorIN3c108BFloat16ELi2EEEJddPfddbbbS9_S9_EEEvT_T0_DpT1_, .Lfunc_end7-_ZN2at6native12_GLOBAL__N_125multi_tensor_apply_kernelINS1_18TensorListMetadataILi2EEENS1_19FusedSgdMathFunctorIN3c108BFloat16ELi2EEEJddPfddbbbS9_S9_EEEvT_T0_DpT1_
                                        ; -- End function
	.section	.AMDGPU.csdata,"",@progbits
; Kernel info:
; codeLenInByte = 3280
; NumSgprs: 40
; NumVgprs: 31
; NumAgprs: 0
; TotalNumVgprs: 31
; ScratchSize: 0
; MemoryBound: 0
; FloatMode: 240
; IeeeMode: 1
; LDSByteSize: 0 bytes/workgroup (compile time only)
; SGPRBlocks: 4
; VGPRBlocks: 3
; NumSGPRsForWavesPerEU: 40
; NumVGPRsForWavesPerEU: 31
; AccumOffset: 32
; Occupancy: 8
; WaveLimiterHint : 0
; COMPUTE_PGM_RSRC2:SCRATCH_EN: 0
; COMPUTE_PGM_RSRC2:USER_SGPR: 6
; COMPUTE_PGM_RSRC2:TRAP_HANDLER: 0
; COMPUTE_PGM_RSRC2:TGID_X_EN: 1
; COMPUTE_PGM_RSRC2:TGID_Y_EN: 0
; COMPUTE_PGM_RSRC2:TGID_Z_EN: 0
; COMPUTE_PGM_RSRC2:TIDIG_COMP_CNT: 0
; COMPUTE_PGM_RSRC3_GFX90A:ACCUM_OFFSET: 7
; COMPUTE_PGM_RSRC3_GFX90A:TG_SPLIT: 0
	.text
	.p2alignl 6, 3212836864
	.fill 256, 4, 3212836864
	.type	__hip_cuid_eb03d37d56e11fae,@object ; @__hip_cuid_eb03d37d56e11fae
	.section	.bss,"aw",@nobits
	.globl	__hip_cuid_eb03d37d56e11fae
__hip_cuid_eb03d37d56e11fae:
	.byte	0                               ; 0x0
	.size	__hip_cuid_eb03d37d56e11fae, 1

	.ident	"AMD clang version 19.0.0git (https://github.com/RadeonOpenCompute/llvm-project roc-6.4.0 25133 c7fe45cf4b819c5991fe208aaa96edf142730f1d)"
	.section	".note.GNU-stack","",@progbits
	.addrsig
	.addrsig_sym __hip_cuid_eb03d37d56e11fae
	.amdgpu_metadata
---
amdhsa.kernels:
  - .agpr_count:     0
    .args:
      - .offset:         0
        .size:           3144
        .value_kind:     by_value
      - .offset:         3144
        .size:           1
        .value_kind:     by_value
      - .offset:         3152
        .size:           8
        .value_kind:     by_value
      - .offset:         3160
        .size:           8
        .value_kind:     by_value
      - .address_space:  global
        .offset:         3168
        .size:           8
        .value_kind:     global_buffer
      - .offset:         3176
        .size:           8
        .value_kind:     by_value
      - .offset:         3184
        .size:           8
        .value_kind:     by_value
      - .offset:         3192
        .size:           1
        .value_kind:     by_value
      - .offset:         3193
        .size:           1
        .value_kind:     by_value
      - .offset:         3194
        .size:           1
        .value_kind:     by_value
      - .address_space:  global
        .offset:         3200
        .size:           8
        .value_kind:     global_buffer
      - .address_space:  global
        .offset:         3208
        .size:           8
        .value_kind:     global_buffer
      - .offset:         3216
        .size:           4
        .value_kind:     hidden_block_count_x
      - .offset:         3220
        .size:           4
        .value_kind:     hidden_block_count_y
      - .offset:         3224
        .size:           4
        .value_kind:     hidden_block_count_z
      - .offset:         3228
        .size:           2
        .value_kind:     hidden_group_size_x
      - .offset:         3230
        .size:           2
        .value_kind:     hidden_group_size_y
      - .offset:         3232
        .size:           2
        .value_kind:     hidden_group_size_z
      - .offset:         3234
        .size:           2
        .value_kind:     hidden_remainder_x
      - .offset:         3236
        .size:           2
        .value_kind:     hidden_remainder_y
      - .offset:         3238
        .size:           2
        .value_kind:     hidden_remainder_z
      - .offset:         3256
        .size:           8
        .value_kind:     hidden_global_offset_x
      - .offset:         3264
        .size:           8
        .value_kind:     hidden_global_offset_y
      - .offset:         3272
        .size:           8
        .value_kind:     hidden_global_offset_z
      - .offset:         3280
        .size:           2
        .value_kind:     hidden_grid_dims
    .group_segment_fixed_size: 0
    .kernarg_segment_align: 8
    .kernarg_segment_size: 3472
    .language:       OpenCL C
    .language_version:
      - 2
      - 0
    .max_flat_workgroup_size: 512
    .name:           _ZN2at6native12_GLOBAL__N_125multi_tensor_apply_kernelINS1_18TensorListMetadataILi3EEENS1_19FusedSgdMathFunctorIdLi3EEEJddPfddbbbS7_S7_EEEvT_T0_DpT1_
    .private_segment_fixed_size: 0
    .sgpr_count:     54
    .sgpr_spill_count: 0
    .symbol:         _ZN2at6native12_GLOBAL__N_125multi_tensor_apply_kernelINS1_18TensorListMetadataILi3EEENS1_19FusedSgdMathFunctorIdLi3EEEJddPfddbbbS7_S7_EEEvT_T0_DpT1_.kd
    .uniform_work_group_size: 1
    .uses_dynamic_stack: false
    .vgpr_count:     52
    .vgpr_spill_count: 0
    .wavefront_size: 64
  - .agpr_count:     0
    .args:
      - .offset:         0
        .size:           3144
        .value_kind:     by_value
      - .offset:         3144
        .size:           1
        .value_kind:     by_value
      - .offset:         3152
        .size:           8
        .value_kind:     by_value
      - .offset:         3160
        .size:           8
        .value_kind:     by_value
      - .address_space:  global
        .offset:         3168
        .size:           8
        .value_kind:     global_buffer
      - .offset:         3176
        .size:           8
        .value_kind:     by_value
      - .offset:         3184
        .size:           8
        .value_kind:     by_value
      - .offset:         3192
        .size:           1
        .value_kind:     by_value
      - .offset:         3193
        .size:           1
        .value_kind:     by_value
      - .offset:         3194
        .size:           1
        .value_kind:     by_value
      - .address_space:  global
        .offset:         3200
        .size:           8
        .value_kind:     global_buffer
      - .address_space:  global
        .offset:         3208
        .size:           8
        .value_kind:     global_buffer
      - .offset:         3216
        .size:           4
        .value_kind:     hidden_block_count_x
      - .offset:         3220
        .size:           4
        .value_kind:     hidden_block_count_y
      - .offset:         3224
        .size:           4
        .value_kind:     hidden_block_count_z
      - .offset:         3228
        .size:           2
        .value_kind:     hidden_group_size_x
      - .offset:         3230
        .size:           2
        .value_kind:     hidden_group_size_y
      - .offset:         3232
        .size:           2
        .value_kind:     hidden_group_size_z
      - .offset:         3234
        .size:           2
        .value_kind:     hidden_remainder_x
      - .offset:         3236
        .size:           2
        .value_kind:     hidden_remainder_y
      - .offset:         3238
        .size:           2
        .value_kind:     hidden_remainder_z
      - .offset:         3256
        .size:           8
        .value_kind:     hidden_global_offset_x
      - .offset:         3264
        .size:           8
        .value_kind:     hidden_global_offset_y
      - .offset:         3272
        .size:           8
        .value_kind:     hidden_global_offset_z
      - .offset:         3280
        .size:           2
        .value_kind:     hidden_grid_dims
    .group_segment_fixed_size: 0
    .kernarg_segment_align: 8
    .kernarg_segment_size: 3472
    .language:       OpenCL C
    .language_version:
      - 2
      - 0
    .max_flat_workgroup_size: 512
    .name:           _ZN2at6native12_GLOBAL__N_125multi_tensor_apply_kernelINS1_18TensorListMetadataILi3EEENS1_19FusedSgdMathFunctorIfLi3EEEJddPfddbbbS7_S7_EEEvT_T0_DpT1_
    .private_segment_fixed_size: 0
    .sgpr_count:     47
    .sgpr_spill_count: 0
    .symbol:         _ZN2at6native12_GLOBAL__N_125multi_tensor_apply_kernelINS1_18TensorListMetadataILi3EEENS1_19FusedSgdMathFunctorIfLi3EEEJddPfddbbbS7_S7_EEEvT_T0_DpT1_.kd
    .uniform_work_group_size: 1
    .uses_dynamic_stack: false
    .vgpr_count:     36
    .vgpr_spill_count: 0
    .wavefront_size: 64
  - .agpr_count:     0
    .args:
      - .offset:         0
        .size:           3144
        .value_kind:     by_value
      - .offset:         3144
        .size:           1
        .value_kind:     by_value
      - .offset:         3152
        .size:           8
        .value_kind:     by_value
      - .offset:         3160
        .size:           8
        .value_kind:     by_value
      - .address_space:  global
        .offset:         3168
        .size:           8
        .value_kind:     global_buffer
      - .offset:         3176
        .size:           8
        .value_kind:     by_value
      - .offset:         3184
        .size:           8
        .value_kind:     by_value
      - .offset:         3192
        .size:           1
        .value_kind:     by_value
      - .offset:         3193
        .size:           1
        .value_kind:     by_value
      - .offset:         3194
        .size:           1
        .value_kind:     by_value
      - .address_space:  global
        .offset:         3200
        .size:           8
        .value_kind:     global_buffer
      - .address_space:  global
        .offset:         3208
        .size:           8
        .value_kind:     global_buffer
      - .offset:         3216
        .size:           4
        .value_kind:     hidden_block_count_x
      - .offset:         3220
        .size:           4
        .value_kind:     hidden_block_count_y
      - .offset:         3224
        .size:           4
        .value_kind:     hidden_block_count_z
      - .offset:         3228
        .size:           2
        .value_kind:     hidden_group_size_x
      - .offset:         3230
        .size:           2
        .value_kind:     hidden_group_size_y
      - .offset:         3232
        .size:           2
        .value_kind:     hidden_group_size_z
      - .offset:         3234
        .size:           2
        .value_kind:     hidden_remainder_x
      - .offset:         3236
        .size:           2
        .value_kind:     hidden_remainder_y
      - .offset:         3238
        .size:           2
        .value_kind:     hidden_remainder_z
      - .offset:         3256
        .size:           8
        .value_kind:     hidden_global_offset_x
      - .offset:         3264
        .size:           8
        .value_kind:     hidden_global_offset_y
      - .offset:         3272
        .size:           8
        .value_kind:     hidden_global_offset_z
      - .offset:         3280
        .size:           2
        .value_kind:     hidden_grid_dims
    .group_segment_fixed_size: 0
    .kernarg_segment_align: 8
    .kernarg_segment_size: 3472
    .language:       OpenCL C
    .language_version:
      - 2
      - 0
    .max_flat_workgroup_size: 512
    .name:           _ZN2at6native12_GLOBAL__N_125multi_tensor_apply_kernelINS1_18TensorListMetadataILi3EEENS1_19FusedSgdMathFunctorIN3c104HalfELi3EEEJddPfddbbbS9_S9_EEEvT_T0_DpT1_
    .private_segment_fixed_size: 0
    .sgpr_count:     47
    .sgpr_spill_count: 0
    .symbol:         _ZN2at6native12_GLOBAL__N_125multi_tensor_apply_kernelINS1_18TensorListMetadataILi3EEENS1_19FusedSgdMathFunctorIN3c104HalfELi3EEEJddPfddbbbS9_S9_EEEvT_T0_DpT1_.kd
    .uniform_work_group_size: 1
    .uses_dynamic_stack: false
    .vgpr_count:     37
    .vgpr_spill_count: 0
    .wavefront_size: 64
  - .agpr_count:     0
    .args:
      - .offset:         0
        .size:           3144
        .value_kind:     by_value
      - .offset:         3144
        .size:           1
        .value_kind:     by_value
      - .offset:         3152
        .size:           8
        .value_kind:     by_value
      - .offset:         3160
        .size:           8
        .value_kind:     by_value
      - .address_space:  global
        .offset:         3168
        .size:           8
        .value_kind:     global_buffer
      - .offset:         3176
        .size:           8
        .value_kind:     by_value
      - .offset:         3184
        .size:           8
        .value_kind:     by_value
      - .offset:         3192
        .size:           1
        .value_kind:     by_value
      - .offset:         3193
        .size:           1
        .value_kind:     by_value
      - .offset:         3194
        .size:           1
        .value_kind:     by_value
      - .address_space:  global
        .offset:         3200
        .size:           8
        .value_kind:     global_buffer
      - .address_space:  global
        .offset:         3208
        .size:           8
        .value_kind:     global_buffer
      - .offset:         3216
        .size:           4
        .value_kind:     hidden_block_count_x
      - .offset:         3220
        .size:           4
        .value_kind:     hidden_block_count_y
      - .offset:         3224
        .size:           4
        .value_kind:     hidden_block_count_z
      - .offset:         3228
        .size:           2
        .value_kind:     hidden_group_size_x
      - .offset:         3230
        .size:           2
        .value_kind:     hidden_group_size_y
      - .offset:         3232
        .size:           2
        .value_kind:     hidden_group_size_z
      - .offset:         3234
        .size:           2
        .value_kind:     hidden_remainder_x
      - .offset:         3236
        .size:           2
        .value_kind:     hidden_remainder_y
      - .offset:         3238
        .size:           2
        .value_kind:     hidden_remainder_z
      - .offset:         3256
        .size:           8
        .value_kind:     hidden_global_offset_x
      - .offset:         3264
        .size:           8
        .value_kind:     hidden_global_offset_y
      - .offset:         3272
        .size:           8
        .value_kind:     hidden_global_offset_z
      - .offset:         3280
        .size:           2
        .value_kind:     hidden_grid_dims
    .group_segment_fixed_size: 0
    .kernarg_segment_align: 8
    .kernarg_segment_size: 3472
    .language:       OpenCL C
    .language_version:
      - 2
      - 0
    .max_flat_workgroup_size: 512
    .name:           _ZN2at6native12_GLOBAL__N_125multi_tensor_apply_kernelINS1_18TensorListMetadataILi3EEENS1_19FusedSgdMathFunctorIN3c108BFloat16ELi3EEEJddPfddbbbS9_S9_EEEvT_T0_DpT1_
    .private_segment_fixed_size: 0
    .sgpr_count:     50
    .sgpr_spill_count: 0
    .symbol:         _ZN2at6native12_GLOBAL__N_125multi_tensor_apply_kernelINS1_18TensorListMetadataILi3EEENS1_19FusedSgdMathFunctorIN3c108BFloat16ELi3EEEJddPfddbbbS9_S9_EEEvT_T0_DpT1_.kd
    .uniform_work_group_size: 1
    .uses_dynamic_stack: false
    .vgpr_count:     34
    .vgpr_spill_count: 0
    .wavefront_size: 64
  - .agpr_count:     0
    .args:
      - .offset:         0
        .size:           3144
        .value_kind:     by_value
      - .offset:         3144
        .size:           1
        .value_kind:     by_value
      - .offset:         3152
        .size:           8
        .value_kind:     by_value
      - .offset:         3160
        .size:           8
        .value_kind:     by_value
      - .address_space:  global
        .offset:         3168
        .size:           8
        .value_kind:     global_buffer
      - .offset:         3176
        .size:           8
        .value_kind:     by_value
      - .offset:         3184
        .size:           8
        .value_kind:     by_value
      - .offset:         3192
        .size:           1
        .value_kind:     by_value
      - .offset:         3193
        .size:           1
        .value_kind:     by_value
      - .offset:         3194
        .size:           1
        .value_kind:     by_value
      - .address_space:  global
        .offset:         3200
        .size:           8
        .value_kind:     global_buffer
      - .address_space:  global
        .offset:         3208
        .size:           8
        .value_kind:     global_buffer
      - .offset:         3216
        .size:           4
        .value_kind:     hidden_block_count_x
      - .offset:         3220
        .size:           4
        .value_kind:     hidden_block_count_y
      - .offset:         3224
        .size:           4
        .value_kind:     hidden_block_count_z
      - .offset:         3228
        .size:           2
        .value_kind:     hidden_group_size_x
      - .offset:         3230
        .size:           2
        .value_kind:     hidden_group_size_y
      - .offset:         3232
        .size:           2
        .value_kind:     hidden_group_size_z
      - .offset:         3234
        .size:           2
        .value_kind:     hidden_remainder_x
      - .offset:         3236
        .size:           2
        .value_kind:     hidden_remainder_y
      - .offset:         3238
        .size:           2
        .value_kind:     hidden_remainder_z
      - .offset:         3256
        .size:           8
        .value_kind:     hidden_global_offset_x
      - .offset:         3264
        .size:           8
        .value_kind:     hidden_global_offset_y
      - .offset:         3272
        .size:           8
        .value_kind:     hidden_global_offset_z
      - .offset:         3280
        .size:           2
        .value_kind:     hidden_grid_dims
    .group_segment_fixed_size: 0
    .kernarg_segment_align: 8
    .kernarg_segment_size: 3472
    .language:       OpenCL C
    .language_version:
      - 2
      - 0
    .max_flat_workgroup_size: 512
    .name:           _ZN2at6native12_GLOBAL__N_125multi_tensor_apply_kernelINS1_18TensorListMetadataILi2EEENS1_19FusedSgdMathFunctorIdLi2EEEJddPfddbbbS7_S7_EEEvT_T0_DpT1_
    .private_segment_fixed_size: 0
    .sgpr_count:     43
    .sgpr_spill_count: 0
    .symbol:         _ZN2at6native12_GLOBAL__N_125multi_tensor_apply_kernelINS1_18TensorListMetadataILi2EEENS1_19FusedSgdMathFunctorIdLi2EEEJddPfddbbbS7_S7_EEEvT_T0_DpT1_.kd
    .uniform_work_group_size: 1
    .uses_dynamic_stack: false
    .vgpr_count:     40
    .vgpr_spill_count: 0
    .wavefront_size: 64
  - .agpr_count:     0
    .args:
      - .offset:         0
        .size:           3144
        .value_kind:     by_value
      - .offset:         3144
        .size:           1
        .value_kind:     by_value
      - .offset:         3152
        .size:           8
        .value_kind:     by_value
      - .offset:         3160
        .size:           8
        .value_kind:     by_value
      - .address_space:  global
        .offset:         3168
        .size:           8
        .value_kind:     global_buffer
      - .offset:         3176
        .size:           8
        .value_kind:     by_value
      - .offset:         3184
        .size:           8
        .value_kind:     by_value
      - .offset:         3192
        .size:           1
        .value_kind:     by_value
      - .offset:         3193
        .size:           1
        .value_kind:     by_value
      - .offset:         3194
        .size:           1
        .value_kind:     by_value
      - .address_space:  global
        .offset:         3200
        .size:           8
        .value_kind:     global_buffer
      - .address_space:  global
        .offset:         3208
        .size:           8
        .value_kind:     global_buffer
      - .offset:         3216
        .size:           4
        .value_kind:     hidden_block_count_x
      - .offset:         3220
        .size:           4
        .value_kind:     hidden_block_count_y
      - .offset:         3224
        .size:           4
        .value_kind:     hidden_block_count_z
      - .offset:         3228
        .size:           2
        .value_kind:     hidden_group_size_x
      - .offset:         3230
        .size:           2
        .value_kind:     hidden_group_size_y
      - .offset:         3232
        .size:           2
        .value_kind:     hidden_group_size_z
      - .offset:         3234
        .size:           2
        .value_kind:     hidden_remainder_x
      - .offset:         3236
        .size:           2
        .value_kind:     hidden_remainder_y
      - .offset:         3238
        .size:           2
        .value_kind:     hidden_remainder_z
      - .offset:         3256
        .size:           8
        .value_kind:     hidden_global_offset_x
      - .offset:         3264
        .size:           8
        .value_kind:     hidden_global_offset_y
      - .offset:         3272
        .size:           8
        .value_kind:     hidden_global_offset_z
      - .offset:         3280
        .size:           2
        .value_kind:     hidden_grid_dims
    .group_segment_fixed_size: 0
    .kernarg_segment_align: 8
    .kernarg_segment_size: 3472
    .language:       OpenCL C
    .language_version:
      - 2
      - 0
    .max_flat_workgroup_size: 512
    .name:           _ZN2at6native12_GLOBAL__N_125multi_tensor_apply_kernelINS1_18TensorListMetadataILi2EEENS1_19FusedSgdMathFunctorIfLi2EEEJddPfddbbbS7_S7_EEEvT_T0_DpT1_
    .private_segment_fixed_size: 0
    .sgpr_count:     39
    .sgpr_spill_count: 0
    .symbol:         _ZN2at6native12_GLOBAL__N_125multi_tensor_apply_kernelINS1_18TensorListMetadataILi2EEENS1_19FusedSgdMathFunctorIfLi2EEEJddPfddbbbS7_S7_EEEvT_T0_DpT1_.kd
    .uniform_work_group_size: 1
    .uses_dynamic_stack: false
    .vgpr_count:     29
    .vgpr_spill_count: 0
    .wavefront_size: 64
  - .agpr_count:     0
    .args:
      - .offset:         0
        .size:           3144
        .value_kind:     by_value
      - .offset:         3144
        .size:           1
        .value_kind:     by_value
      - .offset:         3152
        .size:           8
        .value_kind:     by_value
      - .offset:         3160
        .size:           8
        .value_kind:     by_value
      - .address_space:  global
        .offset:         3168
        .size:           8
        .value_kind:     global_buffer
      - .offset:         3176
        .size:           8
        .value_kind:     by_value
      - .offset:         3184
        .size:           8
        .value_kind:     by_value
      - .offset:         3192
        .size:           1
        .value_kind:     by_value
      - .offset:         3193
        .size:           1
        .value_kind:     by_value
      - .offset:         3194
        .size:           1
        .value_kind:     by_value
      - .address_space:  global
        .offset:         3200
        .size:           8
        .value_kind:     global_buffer
      - .address_space:  global
        .offset:         3208
        .size:           8
        .value_kind:     global_buffer
      - .offset:         3216
        .size:           4
        .value_kind:     hidden_block_count_x
      - .offset:         3220
        .size:           4
        .value_kind:     hidden_block_count_y
      - .offset:         3224
        .size:           4
        .value_kind:     hidden_block_count_z
      - .offset:         3228
        .size:           2
        .value_kind:     hidden_group_size_x
      - .offset:         3230
        .size:           2
        .value_kind:     hidden_group_size_y
      - .offset:         3232
        .size:           2
        .value_kind:     hidden_group_size_z
      - .offset:         3234
        .size:           2
        .value_kind:     hidden_remainder_x
      - .offset:         3236
        .size:           2
        .value_kind:     hidden_remainder_y
      - .offset:         3238
        .size:           2
        .value_kind:     hidden_remainder_z
      - .offset:         3256
        .size:           8
        .value_kind:     hidden_global_offset_x
      - .offset:         3264
        .size:           8
        .value_kind:     hidden_global_offset_y
      - .offset:         3272
        .size:           8
        .value_kind:     hidden_global_offset_z
      - .offset:         3280
        .size:           2
        .value_kind:     hidden_grid_dims
    .group_segment_fixed_size: 0
    .kernarg_segment_align: 8
    .kernarg_segment_size: 3472
    .language:       OpenCL C
    .language_version:
      - 2
      - 0
    .max_flat_workgroup_size: 512
    .name:           _ZN2at6native12_GLOBAL__N_125multi_tensor_apply_kernelINS1_18TensorListMetadataILi2EEENS1_19FusedSgdMathFunctorIN3c104HalfELi2EEEJddPfddbbbS9_S9_EEEvT_T0_DpT1_
    .private_segment_fixed_size: 0
    .sgpr_count:     39
    .sgpr_spill_count: 0
    .symbol:         _ZN2at6native12_GLOBAL__N_125multi_tensor_apply_kernelINS1_18TensorListMetadataILi2EEENS1_19FusedSgdMathFunctorIN3c104HalfELi2EEEJddPfddbbbS9_S9_EEEvT_T0_DpT1_.kd
    .uniform_work_group_size: 1
    .uses_dynamic_stack: false
    .vgpr_count:     30
    .vgpr_spill_count: 0
    .wavefront_size: 64
  - .agpr_count:     0
    .args:
      - .offset:         0
        .size:           3144
        .value_kind:     by_value
      - .offset:         3144
        .size:           1
        .value_kind:     by_value
      - .offset:         3152
        .size:           8
        .value_kind:     by_value
      - .offset:         3160
        .size:           8
        .value_kind:     by_value
      - .address_space:  global
        .offset:         3168
        .size:           8
        .value_kind:     global_buffer
      - .offset:         3176
        .size:           8
        .value_kind:     by_value
      - .offset:         3184
        .size:           8
        .value_kind:     by_value
      - .offset:         3192
        .size:           1
        .value_kind:     by_value
      - .offset:         3193
        .size:           1
        .value_kind:     by_value
      - .offset:         3194
        .size:           1
        .value_kind:     by_value
      - .address_space:  global
        .offset:         3200
        .size:           8
        .value_kind:     global_buffer
      - .address_space:  global
        .offset:         3208
        .size:           8
        .value_kind:     global_buffer
      - .offset:         3216
        .size:           4
        .value_kind:     hidden_block_count_x
      - .offset:         3220
        .size:           4
        .value_kind:     hidden_block_count_y
      - .offset:         3224
        .size:           4
        .value_kind:     hidden_block_count_z
      - .offset:         3228
        .size:           2
        .value_kind:     hidden_group_size_x
      - .offset:         3230
        .size:           2
        .value_kind:     hidden_group_size_y
      - .offset:         3232
        .size:           2
        .value_kind:     hidden_group_size_z
      - .offset:         3234
        .size:           2
        .value_kind:     hidden_remainder_x
      - .offset:         3236
        .size:           2
        .value_kind:     hidden_remainder_y
      - .offset:         3238
        .size:           2
        .value_kind:     hidden_remainder_z
      - .offset:         3256
        .size:           8
        .value_kind:     hidden_global_offset_x
      - .offset:         3264
        .size:           8
        .value_kind:     hidden_global_offset_y
      - .offset:         3272
        .size:           8
        .value_kind:     hidden_global_offset_z
      - .offset:         3280
        .size:           2
        .value_kind:     hidden_grid_dims
    .group_segment_fixed_size: 0
    .kernarg_segment_align: 8
    .kernarg_segment_size: 3472
    .language:       OpenCL C
    .language_version:
      - 2
      - 0
    .max_flat_workgroup_size: 512
    .name:           _ZN2at6native12_GLOBAL__N_125multi_tensor_apply_kernelINS1_18TensorListMetadataILi2EEENS1_19FusedSgdMathFunctorIN3c108BFloat16ELi2EEEJddPfddbbbS9_S9_EEEvT_T0_DpT1_
    .private_segment_fixed_size: 0
    .sgpr_count:     40
    .sgpr_spill_count: 0
    .symbol:         _ZN2at6native12_GLOBAL__N_125multi_tensor_apply_kernelINS1_18TensorListMetadataILi2EEENS1_19FusedSgdMathFunctorIN3c108BFloat16ELi2EEEJddPfddbbbS9_S9_EEEvT_T0_DpT1_.kd
    .uniform_work_group_size: 1
    .uses_dynamic_stack: false
    .vgpr_count:     31
    .vgpr_spill_count: 0
    .wavefront_size: 64
amdhsa.target:   amdgcn-amd-amdhsa--gfx90a
amdhsa.version:
  - 1
  - 2
...

	.end_amdgpu_metadata
